;; amdgpu-corpus repo=ROCm/rocFFT kind=compiled arch=gfx1030 opt=O3
	.text
	.amdgcn_target "amdgcn-amd-amdhsa--gfx1030"
	.amdhsa_code_object_version 6
	.protected	bluestein_single_fwd_len1848_dim1_sp_op_CI_CI ; -- Begin function bluestein_single_fwd_len1848_dim1_sp_op_CI_CI
	.globl	bluestein_single_fwd_len1848_dim1_sp_op_CI_CI
	.p2align	8
	.type	bluestein_single_fwd_len1848_dim1_sp_op_CI_CI,@function
bluestein_single_fwd_len1848_dim1_sp_op_CI_CI: ; @bluestein_single_fwd_len1848_dim1_sp_op_CI_CI
; %bb.0:
	s_load_dwordx4 s[8:11], s[4:5], 0x28
	v_mul_u32_u24_e32 v1, 0x11c, v0
	v_mov_b32_e32 v72, 0
	s_mov_b32 s0, exec_lo
	v_lshrrev_b32_e32 v1, 16, v1
	v_add_nc_u32_e32 v71, s6, v1
	s_waitcnt lgkmcnt(0)
	v_cmpx_gt_u64_e64 s[8:9], v[71:72]
	s_cbranch_execz .LBB0_31
; %bb.1:
	s_clause 0x1
	s_load_dwordx4 s[0:3], s[4:5], 0x18
	s_load_dwordx2 s[6:7], s[4:5], 0x0
	v_mul_lo_u16 v1, 0xe7, v1
	v_sub_nc_u16 v17, v0, v1
	v_and_b32_e32 v109, 0xffff, v17
	v_lshlrev_b32_e32 v106, 3, v109
	s_waitcnt lgkmcnt(0)
	s_load_dwordx4 s[12:15], s[0:1], 0x0
	s_clause 0x1
	global_load_dwordx2 v[74:75], v106, s[6:7]
	global_load_dwordx2 v[72:73], v106, s[6:7] offset:1848
	v_add_co_u32 v107, s0, s6, v106
	v_add_co_ci_u32_e64 v108, null, s7, 0, s0
	v_add_co_u32 v2, vcc_lo, 0x1000, v107
	v_add_co_ci_u32_e32 v3, vcc_lo, 0, v108, vcc_lo
	v_add_co_u32 v69, vcc_lo, 0x2000, v107
	v_add_co_ci_u32_e32 v70, vcc_lo, 0, v108, vcc_lo
	v_add_co_u32 v6, vcc_lo, 0x1800, v107
	s_clause 0x1
	global_load_dwordx2 v[78:79], v[2:3], off offset:832
	global_load_dwordx2 v[76:77], v[69:70], off offset:1664
	s_waitcnt lgkmcnt(0)
	v_mad_u64_u32 v[0:1], null, s14, v71, 0
	v_mad_u64_u32 v[4:5], null, s12, v109, 0
	v_add_co_ci_u32_e32 v7, vcc_lo, 0, v108, vcc_lo
	s_mul_i32 s1, s13, 0x268
	s_mul_hi_u32 s7, s12, 0x268
	v_mad_u64_u32 v[8:9], null, s15, v71, v[1:2]
	v_mad_u64_u32 v[2:3], null, s13, v109, v[5:6]
	v_add_co_u32 v9, vcc_lo, 0x2800, v107
	v_add_co_ci_u32_e32 v10, vcc_lo, 0, v108, vcc_lo
	v_mov_b32_e32 v1, v8
	s_mul_i32 s0, s12, 0x268
	v_mov_b32_e32 v5, v2
	s_mul_hi_u32 s9, s12, 0xfffffc17
	s_add_i32 s1, s7, s1
	v_lshlrev_b64 v[0:1], 3, v[0:1]
	s_mul_i32 s8, s13, 0xfffffc17
	v_lshlrev_b64 v[2:3], 3, v[4:5]
	s_mul_i32 s6, s12, 0xfffffc17
	s_sub_i32 s7, s9, s12
	s_lshl_b64 s[12:13], s[0:1], 3
	v_add_co_u32 v0, vcc_lo, s10, v0
	v_add_co_ci_u32_e32 v1, vcc_lo, s11, v1, vcc_lo
	s_add_i32 s7, s7, s8
	v_add_co_u32 v0, vcc_lo, v0, v2
	v_add_co_ci_u32_e32 v1, vcc_lo, v1, v3, vcc_lo
	s_lshl_b64 s[0:1], s[6:7], 3
	v_add_co_u32 v2, vcc_lo, v0, s12
	v_add_co_ci_u32_e32 v3, vcc_lo, s13, v1, vcc_lo
	s_load_dwordx2 s[6:7], s[4:5], 0x38
	v_add_co_u32 v4, vcc_lo, v2, s12
	v_add_co_ci_u32_e32 v5, vcc_lo, s13, v3, vcc_lo
	s_clause 0x1
	global_load_dwordx2 v[11:12], v[0:1], off
	global_load_dwordx2 v[2:3], v[2:3], off
	v_add_co_u32 v0, vcc_lo, v4, s0
	v_add_co_ci_u32_e32 v1, vcc_lo, s1, v5, vcc_lo
	global_load_dwordx2 v[4:5], v[4:5], off
	v_add_co_u32 v13, vcc_lo, v0, s12
	global_load_dwordx2 v[15:16], v[0:1], off
	v_add_co_ci_u32_e32 v14, vcc_lo, s13, v1, vcc_lo
	v_add_co_u32 v0, vcc_lo, v13, s12
	v_add_co_ci_u32_e32 v1, vcc_lo, s13, v14, vcc_lo
	global_load_dwordx2 v[80:81], v[6:7], off offset:632
	global_load_dwordx2 v[6:7], v[13:14], off
	global_load_dwordx2 v[82:83], v[9:10], off offset:1464
	global_load_dwordx2 v[8:9], v[0:1], off
	s_load_dwordx4 s[8:11], s[2:3], 0x0
	v_cmp_gt_u16_e32 vcc_lo, 0x9a, v17
	s_waitcnt vmcnt(7)
	v_mul_f32_e32 v10, v12, v75
	s_waitcnt vmcnt(6)
	v_mul_f32_e32 v14, v2, v79
	v_mul_f32_e32 v13, v3, v79
	;; [unrolled: 1-line block ×3, first 2 shown]
	v_fmac_f32_e32 v10, v11, v74
	v_fma_f32 v14, v3, v78, -v14
	s_waitcnt vmcnt(5)
	v_mul_f32_e32 v3, v4, v77
	v_fmac_f32_e32 v13, v2, v78
	v_mul_f32_e32 v2, v5, v77
	v_fma_f32 v11, v12, v74, -v18
	s_waitcnt vmcnt(4)
	v_mul_f32_e32 v12, v16, v73
	v_fma_f32 v3, v5, v76, -v3
	v_mul_f32_e32 v5, v15, v73
	v_fmac_f32_e32 v2, v4, v76
	s_waitcnt vmcnt(2)
	v_mul_f32_e32 v4, v7, v81
	v_fmac_f32_e32 v12, v15, v72
	v_mul_f32_e32 v15, v6, v81
	ds_write_b64 v106, v[13:14] offset:4928
	s_waitcnt vmcnt(0)
	v_mul_f32_e32 v14, v9, v83
	v_mul_f32_e32 v18, v8, v83
	v_fma_f32 v13, v16, v72, -v5
	v_fmac_f32_e32 v4, v6, v80
	v_fma_f32 v5, v7, v80, -v15
	v_fmac_f32_e32 v14, v8, v82
	v_fma_f32 v15, v9, v82, -v18
	ds_write_b64 v106, v[2:3] offset:9856
	ds_write2_b64 v106, v[10:11], v[12:13] offset1:231
	ds_write_b64 v106, v[4:5] offset:6776
	ds_write_b64 v106, v[14:15] offset:11704
	s_and_saveexec_b32 s2, vcc_lo
	s_cbranch_execz .LBB0_3
; %bb.2:
	v_add_co_u32 v0, s0, v0, s0
	v_add_co_ci_u32_e64 v1, s0, s1, v1, s0
	v_add_co_u32 v2, s0, 0x800, v107
	v_add_co_ci_u32_e64 v3, s0, 0, v108, s0
	global_load_dwordx2 v[4:5], v[0:1], off
	global_load_dwordx2 v[2:3], v[2:3], off offset:1648
	v_add_co_u32 v0, s0, v0, s12
	v_add_co_ci_u32_e64 v1, s0, s13, v1, s0
	v_add_co_u32 v6, s0, 0x3000, v107
	v_add_co_ci_u32_e64 v7, s0, 0, v108, s0
	;; [unrolled: 2-line block ×3, first 2 shown]
	global_load_dwordx2 v[0:1], v[0:1], off
	s_clause 0x1
	global_load_dwordx2 v[10:11], v[69:70], off offset:432
	global_load_dwordx2 v[6:7], v[6:7], off offset:1264
	global_load_dwordx2 v[8:9], v[8:9], off
	s_waitcnt vmcnt(4)
	v_mul_f32_e32 v12, v5, v3
	v_mul_f32_e32 v13, v4, v3
	v_fmac_f32_e32 v12, v4, v2
	v_fma_f32 v13, v5, v2, -v13
	s_waitcnt vmcnt(2)
	v_mul_f32_e32 v3, v1, v11
	v_mul_f32_e32 v4, v0, v11
	s_waitcnt vmcnt(0)
	v_mul_f32_e32 v14, v9, v7
	v_mul_f32_e32 v7, v8, v7
	v_fmac_f32_e32 v3, v0, v10
	v_fma_f32 v4, v1, v10, -v4
	v_fmac_f32_e32 v14, v8, v6
	v_fma_f32 v15, v9, v6, -v7
	ds_write_b64 v106, v[12:13] offset:3696
	ds_write_b64 v106, v[3:4] offset:8624
	;; [unrolled: 1-line block ×3, first 2 shown]
.LBB0_3:
	s_or_b32 exec_lo, exec_lo, s2
	v_add_nc_u32_e32 v0, 0x1300, v106
	v_add_nc_u32_e32 v1, 0x2600, v106
	s_waitcnt lgkmcnt(0)
	s_barrier
	buffer_gl0_inv
	ds_read2_b64 v[24:27], v106 offset1:231
	ds_read2_b64 v[4:7], v0 offset0:8 offset1:239
	ds_read2_b64 v[0:3], v1 offset0:16 offset1:247
                                        ; implicit-def: $vgpr8
                                        ; implicit-def: $vgpr10
                                        ; implicit-def: $vgpr20
	s_and_saveexec_b32 s0, vcc_lo
	s_cbranch_execz .LBB0_5
; %bb.4:
	ds_read_b64 v[20:21], v106 offset:3696
	ds_read_b64 v[10:11], v106 offset:8624
	;; [unrolled: 1-line block ×3, first 2 shown]
.LBB0_5:
	s_or_b32 exec_lo, exec_lo, s0
	s_waitcnt lgkmcnt(0)
	v_add_f32_e32 v12, v4, v0
	v_add_f32_e32 v13, v24, v4
	;; [unrolled: 1-line block ×3, first 2 shown]
	v_sub_f32_e32 v15, v5, v1
	v_add_f32_e32 v5, v25, v5
	v_fma_f32 v32, -0.5, v12, v24
	v_add_f32_e32 v12, v13, v0
	v_fma_f32 v33, -0.5, v14, v25
	v_sub_f32_e32 v0, v4, v0
	v_add_f32_e32 v13, v5, v1
	v_add_f32_e32 v1, v6, v2
	v_fmamk_f32 v14, v15, 0x3f5db3d7, v32
	v_fmac_f32_e32 v32, 0xbf5db3d7, v15
	v_fmamk_f32 v15, v0, 0xbf5db3d7, v33
	v_add_f32_e32 v4, v26, v6
	v_fmac_f32_e32 v33, 0x3f5db3d7, v0
	v_add_f32_e32 v0, v7, v3
	v_fma_f32 v26, -0.5, v1, v26
	v_sub_f32_e32 v1, v7, v3
	s_load_dwordx2 s[2:3], s[4:5], 0x8
	v_add_f32_e32 v34, v4, v2
	v_add_f32_e32 v4, v27, v7
	v_fmac_f32_e32 v27, -0.5, v0
	v_sub_f32_e32 v0, v6, v2
	v_fmamk_f32 v24, v1, 0x3f5db3d7, v26
	v_fmac_f32_e32 v26, 0xbf5db3d7, v1
	v_add_f32_e32 v1, v8, v10
	v_add_co_u32 v88, null, 0xe7, v109
	v_fmamk_f32 v25, v0, 0xbf5db3d7, v27
	v_add_f32_e32 v2, v10, v20
	v_fmac_f32_e32 v27, 0x3f5db3d7, v0
	v_add_f32_e32 v0, v9, v11
	v_fmac_f32_e32 v20, -0.5, v1
	v_sub_f32_e32 v1, v11, v9
	v_add_co_u32 v16, null, 0x1ce, v109
	v_add_f32_e32 v36, v8, v2
	v_add_f32_e32 v2, v11, v21
	v_fmac_f32_e32 v21, -0.5, v0
	v_sub_f32_e32 v0, v10, v8
	v_fmamk_f32 v38, v1, 0x3f5db3d7, v20
	v_fmac_f32_e32 v20, 0xbf5db3d7, v1
	v_mul_u32_u24_e32 v68, 3, v109
	v_mul_u32_u24_e32 v1, 3, v88
	v_add_f32_e32 v35, v4, v3
	v_add_f32_e32 v37, v9, v2
	v_fmamk_f32 v39, v0, 0xbf5db3d7, v21
	v_fmac_f32_e32 v21, 0x3f5db3d7, v0
	v_lshlrev_b32_e32 v115, 3, v68
	v_lshlrev_b32_e32 v113, 3, v1
	v_mul_u32_u24_e32 v114, 3, v16
	s_waitcnt lgkmcnt(0)
	s_barrier
	buffer_gl0_inv
	ds_write2_b64 v115, v[12:13], v[14:15] offset1:1
	ds_write_b64 v115, v[32:33] offset:16
	ds_write2_b64 v113, v[34:35], v[24:25] offset1:1
	ds_write_b64 v113, v[26:27] offset:16
	s_and_saveexec_b32 s0, vcc_lo
	s_cbranch_execz .LBB0_7
; %bb.6:
	v_lshlrev_b32_e32 v0, 3, v114
	ds_write2_b64 v0, v[36:37], v[38:39] offset1:1
	ds_write_b64 v0, v[20:21] offset:16
.LBB0_7:
	s_or_b32 exec_lo, exec_lo, s0
	v_cmp_gt_u16_e64 s0, 0xa8, v109
	s_waitcnt lgkmcnt(0)
	s_barrier
	buffer_gl0_inv
                                        ; implicit-def: $vgpr40
	s_and_saveexec_b32 s1, s0
	s_cbranch_execz .LBB0_9
; %bb.8:
	v_add_nc_u32_e32 v0, 0x1400, v106
	v_add_nc_u32_e32 v1, 0x800, v106
	ds_read2_b64 v[24:27], v0 offset0:32 offset1:200
	v_add_nc_u32_e32 v0, 0x1e00, v106
	ds_read2_b64 v[32:35], v1 offset0:80 offset1:248
	v_add_nc_u32_e32 v1, 0x2800, v106
	ds_read2_b64 v[12:15], v106 offset1:168
	ds_read_b64 v[40:41], v106 offset:13440
	ds_read2_b64 v[36:39], v0 offset0:48 offset1:216
	ds_read2_b64 v[20:23], v1 offset0:64 offset1:232
.LBB0_9:
	s_or_b32 exec_lo, exec_lo, s1
	v_and_b32_e32 v42, 0xff, v109
	v_mul_lo_u16 v0, 0xab, v42
	v_lshrrev_b16 v111, 9, v0
	v_mul_lo_u16 v0, v111, 3
	v_sub_nc_u16 v0, v109, v0
	v_and_b32_e32 v110, 0xff, v0
	v_mul_u32_u24_e32 v0, 10, v110
	v_lshlrev_b32_e32 v8, 3, v0
	s_clause 0x4
	global_load_dwordx4 v[28:31], v8, s[2:3]
	global_load_dwordx4 v[16:19], v8, s[2:3] offset:16
	global_load_dwordx4 v[4:7], v8, s[2:3] offset:32
	;; [unrolled: 1-line block ×4, first 2 shown]
	s_waitcnt vmcnt(0) lgkmcnt(0)
	s_barrier
	buffer_gl0_inv
	v_mul_f32_e32 v44, v15, v29
	v_mul_f32_e32 v60, v14, v29
	;; [unrolled: 1-line block ×8, first 2 shown]
	v_fmac_f32_e32 v59, v33, v30
	v_fma_f32 v33, v14, v28, -v44
	v_fmac_f32_e32 v60, v15, v28
	v_fmac_f32_e32 v52, v41, v10
	v_fma_f32 v14, v40, v10, -v63
	v_mul_f32_e32 v46, v35, v17
	v_mul_f32_e32 v58, v34, v17
	;; [unrolled: 1-line block ×5, first 2 shown]
	v_fma_f32 v61, v32, v30, -v45
	v_fmac_f32_e32 v43, v23, v8
	v_fma_f32 v15, v22, v8, -v62
	v_sub_f32_e32 v92, v60, v52
	v_sub_f32_e32 v66, v33, v14
	v_mul_f32_e32 v47, v25, v19
	v_mul_f32_e32 v57, v24, v19
	;; [unrolled: 1-line block ×6, first 2 shown]
	v_fma_f32 v32, v34, v16, -v46
	v_fmac_f32_e32 v58, v35, v16
	v_fmac_f32_e32 v55, v37, v6
	v_fma_f32 v20, v20, v2, -v51
	v_fmac_f32_e32 v53, v21, v2
	v_add_f32_e32 v64, v33, v14
	v_sub_f32_e32 v89, v59, v43
	v_add_f32_e32 v100, v60, v52
	v_sub_f32_e32 v84, v61, v15
	v_mul_f32_e32 v37, 0xbf0a6770, v92
	v_mul_f32_e32 v40, 0xbf0a6770, v66
	;; [unrolled: 1-line block ×9, first 2 shown]
	v_fmac_f32_e32 v56, v27, v4
	v_fma_f32 v27, v24, v18, -v47
	v_fmac_f32_e32 v57, v25, v18
	v_fma_f32 v24, v38, v0, -v50
	v_fmac_f32_e32 v54, v39, v0
	v_add_f32_e32 v63, v61, v15
	v_add_f32_e32 v101, v59, v43
	v_sub_f32_e32 v99, v58, v53
	v_sub_f32_e32 v87, v32, v20
	v_mul_f32_e32 v35, 0xbf68dda4, v89
	v_mul_f32_e32 v39, 0xbf68dda4, v84
	;; [unrolled: 1-line block ×8, first 2 shown]
	v_fmamk_f32 v44, v64, 0x3f575c64, v37
	v_fma_f32 v46, 0x3f575c64, v100, -v40
	v_fmamk_f32 v139, v64, 0x3ed4b147, v85
	v_fma_f32 v141, 0x3ed4b147, v100, -v96
	;; [unrolled: 2-line block ×4, first 2 shown]
	v_fma_f32 v26, v26, v4, -v48
	v_fma_f32 v25, v36, v6, -v49
	v_add_f32_e32 v65, v32, v20
	v_add_f32_e32 v117, v58, v53
	v_sub_f32_e32 v120, v57, v54
	v_sub_f32_e32 v97, v27, v24
	v_mul_f32_e32 v34, 0xbf7d64f0, v99
	v_mul_f32_e32 v38, 0xbf7d64f0, v87
	;; [unrolled: 1-line block ×8, first 2 shown]
	v_fmamk_f32 v45, v63, 0x3ed4b147, v35
	v_fma_f32 v47, 0x3ed4b147, v101, -v39
	v_fmamk_f32 v140, v63, 0xbf27a4f4, v67
	v_fma_f32 v142, 0xbf27a4f4, v101, -v93
	v_fmamk_f32 v150, v63, 0xbf75a155, v112
	v_fma_f32 v152, 0xbf75a155, v101, -v123
	v_fmamk_f32 v160, v63, 0xbe11bafb, v130
	v_fma_f32 v162, 0xbe11bafb, v101, -v134
	v_add_f32_e32 v44, v12, v44
	v_add_f32_e32 v46, v13, v46
	;; [unrolled: 1-line block ×10, first 2 shown]
	v_sub_f32_e32 v122, v56, v55
	v_sub_f32_e32 v105, v26, v25
	v_mul_f32_e32 v22, 0xbf4178ce, v120
	v_mul_f32_e32 v36, 0xbf4178ce, v97
	;; [unrolled: 1-line block ×8, first 2 shown]
	v_fmamk_f32 v48, v65, 0xbe11bafb, v34
	v_fma_f32 v49, 0xbe11bafb, v117, -v38
	v_fmamk_f32 v143, v65, 0xbf75a155, v86
	v_fma_f32 v144, 0xbf75a155, v117, -v94
	;; [unrolled: 2-line block ×4, first 2 shown]
	v_add_f32_e32 v44, v45, v44
	v_add_f32_e32 v45, v47, v46
	;; [unrolled: 1-line block ×10, first 2 shown]
	v_mul_f32_e32 v21, 0xbe903f40, v122
	v_mul_f32_e32 v23, 0xbe903f40, v105
	;; [unrolled: 1-line block ×8, first 2 shown]
	v_fmamk_f32 v50, v95, 0xbf27a4f4, v22
	v_fma_f32 v51, 0xbf27a4f4, v125, -v36
	v_fmamk_f32 v145, v95, 0xbe11bafb, v62
	v_fma_f32 v146, 0xbe11bafb, v125, -v90
	;; [unrolled: 2-line block ×4, first 2 shown]
	v_add_f32_e32 v44, v48, v44
	v_add_f32_e32 v45, v49, v45
	;; [unrolled: 1-line block ×8, first 2 shown]
	v_fmamk_f32 v137, v98, 0xbf75a155, v21
	v_fma_f32 v138, 0xbf75a155, v128, -v23
	v_fmamk_f32 v147, v98, 0x3f575c64, v41
	v_fma_f32 v148, 0x3f575c64, v128, -v91
	v_fmamk_f32 v157, v98, 0xbf27a4f4, v102
	v_fma_f32 v158, 0xbf27a4f4, v128, -v118
	v_fmamk_f32 v167, v98, 0x3ed4b147, v126
	v_fma_f32 v168, 0x3ed4b147, v128, -v132
	v_add_f32_e32 v44, v50, v44
	v_add_f32_e32 v45, v51, v45
	;; [unrolled: 1-line block ×16, first 2 shown]
	s_and_saveexec_b32 s1, s0
	s_cbranch_execz .LBB0_11
; %bb.10:
	v_mul_f32_e32 v138, 0x3f575c64, v100
	v_mul_f32_e32 v140, 0x3ed4b147, v100
	;; [unrolled: 1-line block ×9, first 2 shown]
	v_fmamk_f32 v174, v66, 0x3e903f40, v100
	v_mul_f32_e32 v101, 0x3f575c64, v101
	v_mul_f32_e32 v92, 0xbe903f40, v92
	v_fmac_f32_e32 v100, 0xbe903f40, v66
	v_mul_f32_e32 v137, 0x3f575c64, v64
	v_mul_f32_e32 v139, 0x3ed4b147, v64
	;; [unrolled: 1-line block ×8, first 2 shown]
	v_add_f32_e32 v174, v13, v174
	v_fmamk_f32 v177, v84, 0xbf0a6770, v101
	v_mul_f32_e32 v117, 0xbf27a4f4, v117
	v_fmamk_f32 v179, v64, 0xbf75a155, v92
	v_mul_f32_e32 v89, 0x3f0a6770, v89
	v_add_f32_e32 v100, v13, v100
	v_fmac_f32_e32 v101, 0x3f0a6770, v84
	v_fma_f32 v64, 0xbf75a155, v64, -v92
	v_mul_f32_e32 v145, 0x3ed4b147, v63
	v_mul_f32_e32 v147, 0xbf27a4f4, v63
	;; [unrolled: 1-line block ×8, first 2 shown]
	v_add_f32_e32 v174, v177, v174
	v_fmamk_f32 v177, v87, 0x3f4178ce, v117
	v_mul_f32_e32 v125, 0x3ed4b147, v125
	v_add_f32_e32 v179, v12, v179
	v_fmamk_f32 v180, v63, 0x3f575c64, v89
	v_mul_f32_e32 v99, 0xbf4178ce, v99
	v_add_f32_e32 v100, v101, v100
	v_fmac_f32_e32 v117, 0xbf4178ce, v87
	v_add_f32_e32 v64, v12, v64
	v_fma_f32 v63, 0x3f575c64, v63, -v89
	v_add_f32_e32 v87, v136, v144
	v_mul_f32_e32 v153, 0xbe11bafb, v65
	v_mul_f32_e32 v155, 0xbf75a155, v65
	;; [unrolled: 1-line block ×8, first 2 shown]
	v_add_f32_e32 v174, v177, v174
	v_fmamk_f32 v177, v97, 0xbf68dda4, v125
	v_mul_f32_e32 v128, 0xbe11bafb, v128
	v_add_f32_e32 v179, v180, v179
	v_fmamk_f32 v180, v65, 0xbf27a4f4, v99
	v_mul_f32_e32 v120, 0x3f68dda4, v120
	v_add_f32_e32 v100, v117, v100
	v_fmac_f32_e32 v125, 0x3f68dda4, v97
	v_add_f32_e32 v63, v63, v64
	v_fma_f32 v64, 0xbf27a4f4, v65, -v99
	v_add_f32_e32 v65, v13, v87
	v_add_f32_e32 v87, v134, v152
	v_mul_f32_e32 v161, 0xbf27a4f4, v95
	v_mul_f32_e32 v163, 0xbe11bafb, v95
	;; [unrolled: 1-line block ×4, first 2 shown]
	v_add_f32_e32 v66, v177, v174
	v_fmamk_f32 v174, v105, 0x3f7d64f0, v128
	v_add_f32_e32 v177, v180, v179
	v_fmamk_f32 v179, v95, 0x3ed4b147, v120
	v_mul_f32_e32 v84, 0xbf7d64f0, v122
	v_add_f32_e32 v97, v125, v100
	v_fmac_f32_e32 v128, 0xbf7d64f0, v105
	v_add_f32_e32 v63, v64, v63
	v_fma_f32 v95, 0x3ed4b147, v95, -v120
	v_add_f32_e32 v65, v87, v65
	v_add_f32_e32 v87, v135, v160
	v_fmamk_f32 v89, v98, 0xbe11bafb, v84
	v_add_f32_e32 v64, v128, v97
	v_sub_f32_e32 v97, v143, v131
	v_add_f32_e32 v63, v95, v63
	v_fma_f32 v84, 0xbe11bafb, v98, -v84
	v_add_f32_e32 v65, v87, v65
	v_add_f32_e32 v87, v133, v168
	;; [unrolled: 1-line block ×3, first 2 shown]
	v_sub_f32_e32 v97, v151, v130
	v_add_f32_e32 v63, v84, v63
	v_add_f32_e32 v84, v124, v142
	;; [unrolled: 1-line block ×4, first 2 shown]
	v_mul_f32_e32 v169, 0xbf75a155, v98
	v_mul_f32_e32 v171, 0x3f575c64, v98
	;; [unrolled: 1-line block ×4, first 2 shown]
	v_add_f32_e32 v95, v97, v95
	v_sub_f32_e32 v97, v159, v129
	v_add_f32_e32 v84, v13, v84
	v_add_f32_e32 v98, v123, v150
	;; [unrolled: 1-line block ×3, first 2 shown]
	v_sub_f32_e32 v65, v141, v116
	v_add_f32_e32 v95, v97, v95
	v_sub_f32_e32 v97, v167, v127
	v_add_f32_e32 v84, v98, v84
	v_add_f32_e32 v98, v121, v158
	;; [unrolled: 1-line block ×3, first 2 shown]
	v_sub_f32_e32 v99, v149, v112
	v_add_f32_e32 v96, v96, v140
	v_add_f32_e32 v95, v97, v95
	v_add_f32_e32 v84, v98, v84
	v_add_f32_e32 v97, v119, v166
	v_add_f32_e32 v65, v99, v65
	v_sub_f32_e32 v98, v157, v103
	v_add_f32_e32 v96, v13, v96
	v_add_f32_e32 v93, v93, v148
	;; [unrolled: 1-line block ×3, first 2 shown]
	v_sub_f32_e32 v97, v165, v104
	v_add_f32_e32 v65, v98, v65
	v_add_f32_e32 v94, v94, v156
	v_add_f32_e32 v93, v93, v96
	v_add_f32_e32 v96, v118, v175
	v_sub_f32_e32 v85, v139, v85
	v_add_f32_e32 v65, v97, v65
	v_sub_f32_e32 v97, v173, v102
	v_add_f32_e32 v93, v94, v93
	v_add_f32_e32 v90, v90, v164
	;; [unrolled: 1-line block ×12, first 2 shown]
	v_sub_f32_e32 v37, v137, v37
	v_add_f32_e32 v60, v91, v61
	v_add_f32_e32 v13, v13, v40
	v_add_f32_e32 v40, v59, v58
	v_sub_f32_e32 v35, v145, v35
	v_add_f32_e32 v12, v12, v37
	v_add_f32_e32 v32, v60, v32
	;; [unrolled: 1-line block ×4, first 2 shown]
	v_sub_f32_e32 v67, v147, v67
	v_add_f32_e32 v12, v35, v12
	v_add_f32_e32 v27, v32, v27
	;; [unrolled: 1-line block ×5, first 2 shown]
	v_sub_f32_e32 v86, v155, v86
	v_add_f32_e32 v26, v27, v26
	v_add_f32_e32 v13, v32, v13
	;; [unrolled: 1-line block ×4, first 2 shown]
	v_sub_f32_e32 v22, v161, v22
	v_add_f32_e32 v25, v26, v25
	v_sub_f32_e32 v26, v153, v34
	v_add_f32_e32 v13, v27, v13
	v_add_f32_e32 v27, v32, v54
	;; [unrolled: 1-line block ×7, first 2 shown]
	v_sub_f32_e32 v61, v163, v62
	v_add_f32_e32 v20, v24, v20
	v_mov_b32_e32 v24, 33
	v_add_f32_e32 v23, v23, v170
	v_add_f32_e32 v12, v22, v12
	v_sub_f32_e32 v21, v169, v21
	v_add_f32_e32 v22, v25, v43
	v_add_f32_e32 v20, v20, v15
	v_mul_u32_u24_sdwa v24, v111, v24 dst_sel:DWORD dst_unused:UNUSED_PAD src0_sel:WORD_0 src1_sel:DWORD
	v_add_f32_e32 v58, v61, v65
	v_sub_f32_e32 v34, v171, v41
	v_sub_f32_e32 v99, v176, v126
	v_add_f32_e32 v92, v179, v177
	v_add_f32_e32 v13, v23, v13
	;; [unrolled: 1-line block ×5, first 2 shown]
	v_add_lshl_u32 v20, v24, v110, 3
	v_add_f32_e32 v32, v34, v58
	v_add_f32_e32 v86, v99, v95
	;; [unrolled: 1-line block ×4, first 2 shown]
	ds_write2_b64 v20, v[14:15], v[12:13] offset1:3
	ds_write2_b64 v20, v[32:33], v[84:85] offset0:6 offset1:9
	ds_write2_b64 v20, v[86:87], v[63:64] offset0:12 offset1:15
	;; [unrolled: 1-line block ×4, first 2 shown]
	ds_write_b64 v20, v[46:47] offset:240
.LBB0_11:
	s_or_b32 exec_lo, exec_lo, s1
	s_waitcnt lgkmcnt(0)
	s_barrier
	buffer_gl0_inv
	ds_read_b64 v[52:53], v106
	ds_read_b64 v[86:87], v106 offset:2112
	ds_read_b64 v[84:85], v106 offset:4224
	;; [unrolled: 1-line block ×6, first 2 shown]
	v_cmp_gt_u16_e64 s1, 33, v109
                                        ; implicit-def: $vgpr54
                                        ; implicit-def: $vgpr58
                                        ; implicit-def: $vgpr56
	s_and_saveexec_b32 s4, s1
	s_cbranch_execz .LBB0_13
; %bb.12:
	ds_read_b64 v[44:45], v106 offset:1848
	ds_read_b64 v[50:51], v106 offset:3960
	;; [unrolled: 1-line block ×7, first 2 shown]
.LBB0_13:
	s_or_b32 exec_lo, exec_lo, s4
	v_mul_lo_u16 v12, 0xf9, v42
	v_mov_b32_e32 v13, 0xf83f
	v_lshrrev_b16 v89, 13, v12
	v_mul_u32_u24_sdwa v13, v88, v13 dst_sel:DWORD dst_unused:UNUSED_PAD src0_sel:WORD_0 src1_sel:DWORD
	v_mul_lo_u16 v12, v89, 33
	v_lshrrev_b32_e32 v14, 21, v13
	v_sub_nc_u16 v12, v109, v12
	v_mul_lo_u16 v14, v14, 33
	v_and_b32_e32 v90, 0xff, v12
	v_sub_nc_u16 v112, v88, v14
	v_mov_b32_e32 v88, 0xe7
	v_mad_u64_u32 v[12:13], null, v90, 48, s[2:3]
	v_mul_lo_u16 v14, v112, 48
	v_mul_u32_u24_sdwa v88, v89, v88 dst_sel:DWORD dst_unused:UNUSED_PAD src0_sel:WORD_0 src1_sel:DWORD
	v_add_lshl_u32 v116, v88, v90, 3
	s_clause 0x2
	global_load_dwordx4 v[40:43], v[12:13], off offset:240
	global_load_dwordx4 v[36:39], v[12:13], off offset:256
	;; [unrolled: 1-line block ×3, first 2 shown]
	v_and_b32_e32 v12, 0xffff, v14
	v_add_co_u32 v24, s4, s2, v12
	v_add_co_ci_u32_e64 v25, null, s3, 0, s4
	s_clause 0x2
	global_load_dwordx4 v[20:23], v[24:25], off offset:240
	global_load_dwordx4 v[12:15], v[24:25], off offset:256
	;; [unrolled: 1-line block ×3, first 2 shown]
	s_waitcnt vmcnt(0) lgkmcnt(0)
	s_barrier
	buffer_gl0_inv
	v_mul_f32_e32 v88, v87, v41
	v_mul_f32_e32 v89, v86, v41
	;; [unrolled: 1-line block ×12, first 2 shown]
	v_fma_f32 v86, v86, v40, -v88
	v_fmac_f32_e32 v89, v87, v40
	v_fma_f32 v84, v84, v42, -v90
	v_fmac_f32_e32 v91, v85, v42
	;; [unrolled: 2-line block ×6, first 2 shown]
	v_mul_f32_e32 v61, v51, v21
	v_mul_f32_e32 v63, v50, v21
	;; [unrolled: 1-line block ×12, first 2 shown]
	v_add_f32_e32 v100, v86, v60
	v_add_f32_e32 v101, v89, v99
	v_sub_f32_e32 v60, v86, v60
	v_sub_f32_e32 v86, v89, v99
	v_add_f32_e32 v89, v84, v62
	v_add_f32_e32 v99, v91, v97
	v_sub_f32_e32 v62, v84, v62
	v_sub_f32_e32 v84, v91, v97
	;; [unrolled: 4-line block ×3, first 2 shown]
	v_fma_f32 v50, v50, v20, -v61
	v_fmac_f32_e32 v63, v51, v20
	v_fma_f32 v48, v48, v22, -v65
	v_fmac_f32_e32 v67, v49, v22
	;; [unrolled: 2-line block ×6, first 2 shown]
	v_add_f32_e32 v54, v89, v100
	v_add_f32_e32 v55, v99, v101
	v_sub_f32_e32 v56, v89, v100
	v_sub_f32_e32 v58, v100, v91
	;; [unrolled: 1-line block ×5, first 2 shown]
	v_add_f32_e32 v85, v64, v62
	v_add_f32_e32 v88, v66, v84
	v_sub_f32_e32 v89, v64, v62
	v_sub_f32_e32 v92, v66, v84
	;; [unrolled: 1-line block ×4, first 2 shown]
	v_add_f32_e32 v93, v50, v51
	v_add_f32_e32 v95, v63, v98
	v_sub_f32_e32 v50, v50, v51
	v_sub_f32_e32 v51, v63, v98
	v_add_f32_e32 v63, v48, v49
	v_add_f32_e32 v96, v67, v94
	v_sub_f32_e32 v57, v99, v101
	v_sub_f32_e32 v64, v60, v64
	;; [unrolled: 1-line block ×5, first 2 shown]
	v_add_f32_e32 v67, v46, v47
	v_add_f32_e32 v94, v87, v90
	v_sub_f32_e32 v46, v47, v46
	v_sub_f32_e32 v47, v90, v87
	v_add_f32_e32 v54, v91, v54
	v_add_f32_e32 v55, v97, v55
	v_add_f32_e32 v60, v85, v60
	v_add_f32_e32 v85, v88, v86
	v_mul_f32_e32 v58, 0x3f4a47b2, v58
	v_mul_f32_e32 v59, 0x3f4a47b2, v59
	;; [unrolled: 1-line block ×8, first 2 shown]
	v_add_f32_e32 v92, v63, v93
	v_add_f32_e32 v97, v96, v95
	v_sub_f32_e32 v98, v63, v93
	v_sub_f32_e32 v99, v96, v95
	;; [unrolled: 1-line block ×6, first 2 shown]
	v_add_f32_e32 v100, v46, v48
	v_add_f32_e32 v101, v47, v49
	v_sub_f32_e32 v102, v46, v48
	v_sub_f32_e32 v103, v47, v49
	;; [unrolled: 1-line block ×6, first 2 shown]
	v_add_f32_e32 v46, v52, v54
	v_add_f32_e32 v47, v53, v55
	v_fmamk_f32 v52, v61, 0x3d64c772, v58
	v_fmamk_f32 v53, v65, 0x3d64c772, v59
	v_fma_f32 v61, 0x3f3bfb3b, v56, -v86
	v_fma_f32 v65, 0x3f3bfb3b, v57, -v87
	;; [unrolled: 1-line block ×3, first 2 shown]
	v_fmamk_f32 v86, v64, 0x3eae86e6, v88
	v_fmamk_f32 v87, v66, 0x3eae86e6, v89
	v_fma_f32 v58, 0x3f5ff5aa, v62, -v88
	v_fma_f32 v62, 0xbeae86e6, v64, -v90
	;; [unrolled: 1-line block ×3, first 2 shown]
	v_add_f32_e32 v66, v67, v92
	v_add_f32_e32 v67, v94, v97
	v_fma_f32 v57, 0xbf3bfb3b, v57, -v59
	v_fma_f32 v59, 0x3f5ff5aa, v84, -v89
	v_mul_f32_e32 v84, 0x3f4a47b2, v93
	v_mul_f32_e32 v88, 0x3f4a47b2, v95
	;; [unrolled: 1-line block ×8, first 2 shown]
	v_fmamk_f32 v54, v54, 0xbf955555, v46
	v_fmamk_f32 v55, v55, 0xbf955555, v47
	v_add_f32_e32 v44, v44, v66
	v_add_f32_e32 v45, v45, v67
	;; [unrolled: 1-line block ×4, first 2 shown]
	v_fmac_f32_e32 v87, 0x3ee1c552, v85
	v_fmac_f32_e32 v58, 0x3ee1c552, v60
	;; [unrolled: 1-line block ×5, first 2 shown]
	v_fmamk_f32 v63, v63, 0x3d64c772, v84
	v_fmamk_f32 v85, v96, 0x3d64c772, v88
	v_fma_f32 v89, 0x3f3bfb3b, v98, -v89
	v_fma_f32 v90, 0x3f3bfb3b, v99, -v90
	;; [unrolled: 1-line block ×4, first 2 shown]
	v_fmamk_f32 v99, v104, 0x3eae86e6, v91
	v_fmamk_f32 v98, v105, 0x3eae86e6, v92
	v_fma_f32 v91, 0x3f5ff5aa, v48, -v91
	v_fma_f32 v92, 0x3f5ff5aa, v49, -v92
	;; [unrolled: 1-line block ×4, first 2 shown]
	v_add_f32_e32 v61, v61, v54
	v_add_f32_e32 v65, v65, v55
	;; [unrolled: 1-line block ×4, first 2 shown]
	v_fmamk_f32 v66, v66, 0xbf955555, v44
	v_fmamk_f32 v67, v67, 0xbf955555, v45
	v_fmac_f32_e32 v86, 0x3ee1c552, v60
	v_add_f32_e32 v60, v52, v54
	v_add_f32_e32 v94, v53, v55
	v_fmac_f32_e32 v99, 0x3ee1c552, v50
	v_fmac_f32_e32 v98, 0x3ee1c552, v51
	;; [unrolled: 1-line block ×6, first 2 shown]
	v_add_f32_e32 v52, v64, v95
	v_sub_f32_e32 v53, v97, v62
	v_sub_f32_e32 v54, v61, v59
	v_add_f32_e32 v55, v58, v65
	v_add_f32_e32 v56, v59, v61
	v_sub_f32_e32 v57, v65, v58
	v_sub_f32_e32 v58, v95, v64
	v_add_f32_e32 v59, v62, v97
	v_add_f32_e32 v62, v63, v66
	;; [unrolled: 1-line block ×8, first 2 shown]
	v_sub_f32_e32 v49, v94, v86
	v_add_f32_e32 v61, v86, v94
	v_add_f32_e32 v102, v98, v62
	v_sub_f32_e32 v103, v63, v99
	v_add_f32_e32 v50, v96, v65
	v_sub_f32_e32 v51, v66, v93
	v_sub_f32_e32 v100, v64, v92
	v_add_f32_e32 v101, v91, v67
	v_add_f32_e32 v94, v92, v64
	v_sub_f32_e32 v95, v67, v91
	v_sub_f32_e32 v96, v65, v96
	v_add_f32_e32 v97, v93, v66
	v_sub_f32_e32 v98, v62, v98
	v_add_f32_e32 v99, v99, v63
	v_sub_f32_e32 v60, v60, v87
	ds_write2_b64 v116, v[46:47], v[48:49] offset1:33
	ds_write2_b64 v116, v[52:53], v[54:55] offset0:66 offset1:99
	ds_write2_b64 v116, v[56:57], v[58:59] offset0:132 offset1:165
	ds_write_b64 v116, v[60:61] offset:1584
	s_and_saveexec_b32 s4, s1
	s_cbranch_execz .LBB0_15
; %bb.14:
	v_mov_b32_e32 v46, 3
	v_lshlrev_b32_sdwa v46, v46, v112 dst_sel:DWORD dst_unused:UNUSED_PAD src0_sel:DWORD src1_sel:WORD_0
	v_add_nc_u32_e32 v47, 0x3000, v46
	ds_write2_b64 v47, v[44:45], v[102:103] offset0:81 offset1:114
	ds_write2_b64 v47, v[50:51], v[100:101] offset0:147 offset1:180
	;; [unrolled: 1-line block ×3, first 2 shown]
	ds_write_b64 v46, v[98:99] offset:14520
.LBB0_15:
	s_or_b32 exec_lo, exec_lo, s4
	v_lshlrev_b32_e32 v48, 3, v68
	s_waitcnt lgkmcnt(0)
	s_barrier
	buffer_gl0_inv
	v_add_nc_u32_e32 v68, 0xe00, v106
	s_clause 0x1
	global_load_dwordx4 v[44:47], v48, s[2:3] offset:1824
	global_load_dwordx2 v[84:85], v48, s[2:3] offset:1840
	v_add_nc_u32_e32 v104, 0x1c80, v106
	v_add_nc_u32_e32 v105, 0x2b00, v106
	ds_read2_b64 v[52:55], v106 offset1:231
	ds_read2_b64 v[56:59], v68 offset0:14 offset1:245
	ds_read2_b64 v[60:63], v104 offset0:12 offset1:243
	;; [unrolled: 1-line block ×3, first 2 shown]
	v_lshlrev_b32_e32 v49, 4, v109
	v_add_co_u32 v48, s2, s2, v48
	v_add_co_ci_u32_e64 v86, null, s3, 0, s2
	s_waitcnt vmcnt(0) lgkmcnt(0)
	v_sub_co_u32 v92, s2, v48, v49
	v_subrev_co_ci_u32_e64 v93, s2, 0, v86, s2
	s_barrier
	v_add_co_u32 v48, s2, 0x1800, v92
	v_add_co_ci_u32_e64 v49, s2, 0, v93, s2
	v_add_co_u32 v86, s2, 0x2000, v92
	v_add_co_ci_u32_e64 v87, s2, 0, v93, s2
	buffer_gl0_inv
	v_mul_f32_e32 v88, v57, v45
	v_mul_f32_e32 v89, v56, v45
	;; [unrolled: 1-line block ×12, first 2 shown]
	v_fma_f32 v56, v56, v44, -v88
	v_fmac_f32_e32 v89, v57, v44
	v_fma_f32 v57, v60, v46, -v90
	v_fmac_f32_e32 v91, v61, v46
	;; [unrolled: 2-line block ×6, first 2 shown]
	v_sub_f32_e32 v62, v52, v57
	v_sub_f32_e32 v63, v53, v91
	;; [unrolled: 1-line block ×8, first 2 shown]
	v_fma_f32 v66, v52, 2.0, -v62
	v_fma_f32 v67, v53, 2.0, -v63
	;; [unrolled: 1-line block ×4, first 2 shown]
	v_sub_f32_e32 v52, v62, v60
	v_fma_f32 v89, v54, 2.0, -v64
	v_fma_f32 v90, v55, 2.0, -v65
	;; [unrolled: 1-line block ×4, first 2 shown]
	v_add_f32_e32 v53, v63, v57
	v_sub_f32_e32 v54, v64, v61
	v_add_f32_e32 v55, v65, v59
	v_sub_f32_e32 v56, v66, v56
	v_sub_f32_e32 v57, v67, v88
	v_sub_f32_e32 v60, v89, v60
	v_sub_f32_e32 v61, v90, v91
	v_fma_f32 v58, v62, 2.0, -v52
	v_fma_f32 v59, v63, 2.0, -v53
	;; [unrolled: 1-line block ×8, first 2 shown]
	v_add_co_u32 v90, s2, 0x2800, v92
	v_add_co_ci_u32_e64 v91, s2, 0, v93, s2
	ds_write2_b64 v106, v[64:65], v[58:59] offset1:231
	ds_write2_b64 v68, v[56:57], v[52:53] offset0:14 offset1:245
	ds_write2_b64 v104, v[66:67], v[62:63] offset0:12 offset1:243
	;; [unrolled: 1-line block ×3, first 2 shown]
	s_waitcnt lgkmcnt(0)
	s_barrier
	buffer_gl0_inv
	global_load_dwordx2 v[88:89], v[48:49], off offset:1224
	v_add_co_u32 v48, s2, 0x3000, v92
	v_add_co_ci_u32_e64 v49, s2, 0, v93, s2
	s_clause 0x2
	global_load_dwordx2 v[92:93], v[86:87], off offset:1024
	global_load_dwordx2 v[90:91], v[90:91], off offset:824
	global_load_dwordx2 v[86:87], v[48:49], off offset:624
	ds_read2_b64 v[52:55], v104 offset0:12 offset1:243
	ds_read2_b64 v[56:59], v105 offset0:10 offset1:241
	ds_read2_b64 v[60:63], v106 offset1:231
	ds_read2_b64 v[64:67], v68 offset0:14 offset1:245
	v_add_nc_u32_e32 v117, 0x2400, v106
	s_waitcnt vmcnt(3) lgkmcnt(3)
	v_mul_f32_e32 v48, v53, v89
	v_mul_f32_e32 v49, v52, v89
	s_waitcnt vmcnt(2)
	v_mul_f32_e32 v104, v55, v93
	s_waitcnt vmcnt(1) lgkmcnt(2)
	v_mul_f32_e32 v118, v57, v91
	v_mul_f32_e32 v105, v54, v93
	;; [unrolled: 1-line block ×3, first 2 shown]
	s_waitcnt vmcnt(0)
	v_mul_f32_e32 v120, v59, v87
	v_mul_f32_e32 v121, v58, v87
	v_fma_f32 v48, v52, v88, -v48
	v_fma_f32 v54, v54, v92, -v104
	;; [unrolled: 1-line block ×3, first 2 shown]
	v_fmac_f32_e32 v49, v53, v88
	v_fmac_f32_e32 v105, v55, v92
	;; [unrolled: 1-line block ×3, first 2 shown]
	v_fma_f32 v58, v58, v86, -v120
	v_fmac_f32_e32 v121, v59, v86
	s_waitcnt lgkmcnt(1)
	v_sub_f32_e32 v52, v60, v48
	v_sub_f32_e32 v54, v62, v54
	s_waitcnt lgkmcnt(0)
	v_sub_f32_e32 v56, v64, v56
	v_sub_f32_e32 v53, v61, v49
	;; [unrolled: 1-line block ×6, first 2 shown]
	v_fma_f32 v58, v60, 2.0, -v52
	v_fma_f32 v60, v62, 2.0, -v54
	;; [unrolled: 1-line block ×3, first 2 shown]
	v_add_co_u32 v64, s2, 0x3800, v107
	v_fma_f32 v59, v61, 2.0, -v53
	v_fma_f32 v61, v63, 2.0, -v55
	;; [unrolled: 1-line block ×3, first 2 shown]
	v_add_co_ci_u32_e64 v65, s2, 0, v108, s2
	v_fma_f32 v48, v66, 2.0, -v104
	v_fma_f32 v49, v67, 2.0, -v105
	ds_write_b64 v106, v[52:53] offset:7392
	ds_write2_b64 v106, v[58:59], v[60:61] offset1:231
	ds_write2_b64 v117, v[54:55], v[56:57] offset0:3 offset1:234
	ds_write2_b64 v68, v[62:63], v[48:49] offset0:14 offset1:245
	ds_write_b64 v106, v[104:105] offset:12936
	s_waitcnt lgkmcnt(0)
	s_barrier
	buffer_gl0_inv
	global_load_dwordx2 v[58:59], v[64:65], off offset:448
	v_add_co_u32 v54, s2, 0x4800, v107
	v_add_co_ci_u32_e64 v55, s2, 0, v108, s2
	v_add_co_u32 v56, s2, 0x6000, v107
	v_add_co_ci_u32_e64 v57, s2, 0, v108, s2
	v_add_co_u32 v52, s2, 0x39c0, v107
	v_add_co_ci_u32_e64 v53, s2, 0, v108, s2
	s_clause 0x2
	global_load_dwordx2 v[66:67], v[54:55], off offset:1280
	global_load_dwordx2 v[117:118], v[56:57], off offset:64
	;; [unrolled: 1-line block ×3, first 2 shown]
	v_add_co_u32 v54, s2, 0x5000, v107
	v_add_co_ci_u32_e64 v55, s2, 0, v108, s2
	s_clause 0x1
	global_load_dwordx2 v[121:122], v[54:55], off offset:1080
	global_load_dwordx2 v[123:124], v[56:57], off offset:1912
	ds_read2_b64 v[54:57], v106 offset1:231
	s_waitcnt vmcnt(5) lgkmcnt(0)
	v_mul_f32_e32 v61, v55, v59
	v_mul_f32_e32 v60, v54, v59
	v_fma_f32 v59, v54, v58, -v61
	v_fmac_f32_e32 v60, v55, v58
	v_add_nc_u32_e32 v55, 0x1300, v106
	v_add_nc_u32_e32 v54, 0x2600, v106
	ds_write_b64 v106, v[59:60]
	ds_read2_b64 v[58:61], v55 offset0:8 offset1:239
	ds_read2_b64 v[62:65], v54 offset0:16 offset1:247
	s_waitcnt vmcnt(2)
	v_mul_f32_e32 v68, v57, v120
	v_mul_f32_e32 v126, v56, v120
	v_fma_f32 v125, v56, v119, -v68
	v_fmac_f32_e32 v126, v57, v119
	s_waitcnt lgkmcnt(1)
	v_mul_f32_e32 v56, v59, v67
	v_mul_f32_e32 v57, v58, v67
	s_waitcnt lgkmcnt(0)
	v_mul_f32_e32 v68, v63, v118
	v_mul_f32_e32 v67, v62, v118
	s_waitcnt vmcnt(1)
	v_mul_f32_e32 v119, v61, v122
	v_mul_f32_e32 v118, v60, v122
	s_waitcnt vmcnt(0)
	v_mul_f32_e32 v122, v65, v124
	v_mul_f32_e32 v120, v64, v124
	v_fma_f32 v56, v58, v66, -v56
	v_fmac_f32_e32 v57, v59, v66
	v_fma_f32 v66, v62, v117, -v68
	v_fmac_f32_e32 v67, v63, v117
	;; [unrolled: 2-line block ×4, first 2 shown]
	ds_write_b64 v106, v[125:126] offset:1848
	ds_write2_b64 v55, v[56:57], v[117:118] offset0:8 offset1:239
	ds_write2_b64 v54, v[66:67], v[119:120] offset0:16 offset1:247
	s_and_saveexec_b32 s3, vcc_lo
	s_cbranch_execz .LBB0_17
; %bb.16:
	v_add_co_u32 v56, s2, 0x800, v52
	v_add_co_ci_u32_e64 v57, s2, 0, v53, s2
	v_add_co_u32 v58, s2, 0x2000, v52
	v_add_co_ci_u32_e64 v59, s2, 0, v53, s2
	;; [unrolled: 2-line block ×3, first 2 shown]
	s_clause 0x2
	global_load_dwordx2 v[56:57], v[56:57], off offset:1648
	global_load_dwordx2 v[58:59], v[58:59], off offset:432
	;; [unrolled: 1-line block ×3, first 2 shown]
	ds_read_b64 v[60:61], v106 offset:3696
	ds_read_b64 v[62:63], v106 offset:8624
	;; [unrolled: 1-line block ×3, first 2 shown]
	s_waitcnt vmcnt(2) lgkmcnt(2)
	v_mul_f32_e32 v66, v61, v57
	v_mul_f32_e32 v67, v60, v57
	s_waitcnt vmcnt(1) lgkmcnt(1)
	v_mul_f32_e32 v68, v63, v59
	v_mul_f32_e32 v57, v62, v59
	;; [unrolled: 3-line block ×3, first 2 shown]
	v_fma_f32 v66, v60, v56, -v66
	v_fmac_f32_e32 v67, v61, v56
	v_fma_f32 v56, v62, v58, -v68
	v_fmac_f32_e32 v57, v63, v58
	;; [unrolled: 2-line block ×3, first 2 shown]
	ds_write_b64 v106, v[66:67] offset:3696
	ds_write_b64 v106, v[56:57] offset:8624
	ds_write_b64 v106, v[58:59] offset:13552
.LBB0_17:
	s_or_b32 exec_lo, exec_lo, s3
	s_waitcnt lgkmcnt(0)
	s_barrier
	buffer_gl0_inv
	ds_read2_b64 v[56:59], v106 offset1:231
	ds_read2_b64 v[61:64], v55 offset0:8 offset1:239
	ds_read2_b64 v[65:68], v54 offset0:16 offset1:247
	s_and_saveexec_b32 s2, vcc_lo
	s_cbranch_execz .LBB0_19
; %bb.18:
	ds_read_b64 v[48:49], v106 offset:3696
	ds_read_b64 v[104:105], v106 offset:8624
	;; [unrolled: 1-line block ×3, first 2 shown]
.LBB0_19:
	s_or_b32 exec_lo, exec_lo, s2
	s_waitcnt lgkmcnt(0)
	v_add_f32_e32 v52, v61, v65
	v_add_f32_e32 v53, v56, v61
	v_add_f32_e32 v54, v62, v66
	v_sub_f32_e32 v55, v62, v66
	v_fma_f32 v60, -0.5, v52, v56
	v_add_f32_e32 v56, v57, v62
	v_sub_f32_e32 v62, v61, v65
	v_add_f32_e32 v52, v53, v65
	v_fma_f32 v61, -0.5, v54, v57
	v_add_f32_e32 v57, v58, v63
	v_add_f32_e32 v65, v64, v68
	v_fmamk_f32 v54, v55, 0xbf5db3d7, v60
	v_fmac_f32_e32 v60, 0x3f5db3d7, v55
	v_add_f32_e32 v53, v56, v66
	v_add_f32_e32 v56, v63, v67
	v_fmamk_f32 v55, v62, 0x3f5db3d7, v61
	v_fmac_f32_e32 v61, 0xbf5db3d7, v62
	v_sub_f32_e32 v66, v64, v68
	v_add_f32_e32 v62, v57, v67
	v_add_f32_e32 v57, v59, v64
	v_fmac_f32_e32 v59, -0.5, v65
	v_sub_f32_e32 v64, v63, v67
	v_fma_f32 v58, -0.5, v56, v58
	v_add_f32_e32 v65, v102, v104
	v_add_f32_e32 v63, v57, v68
	v_add_f32_e32 v67, v105, v49
	v_fmamk_f32 v57, v64, 0x3f5db3d7, v59
	v_fmac_f32_e32 v59, 0xbf5db3d7, v64
	v_add_f32_e32 v64, v103, v105
	v_fmamk_f32 v56, v66, 0xbf5db3d7, v58
	v_fmac_f32_e32 v58, 0x3f5db3d7, v66
	v_add_f32_e32 v66, v104, v48
	v_fmac_f32_e32 v48, -0.5, v65
	v_sub_f32_e32 v65, v105, v103
	v_fmac_f32_e32 v49, -0.5, v64
	v_sub_f32_e32 v68, v104, v102
	v_add_f32_e32 v64, v102, v66
	s_barrier
	v_fmamk_f32 v66, v65, 0xbf5db3d7, v48
	v_fmac_f32_e32 v48, 0x3f5db3d7, v65
	v_add_f32_e32 v65, v103, v67
	v_fmamk_f32 v67, v68, 0x3f5db3d7, v49
	v_fmac_f32_e32 v49, 0xbf5db3d7, v68
	buffer_gl0_inv
	ds_write2_b64 v115, v[52:53], v[54:55] offset1:1
	ds_write_b64 v115, v[60:61] offset:16
	ds_write2_b64 v113, v[62:63], v[56:57] offset1:1
	ds_write_b64 v113, v[58:59] offset:16
	s_and_saveexec_b32 s2, vcc_lo
	s_cbranch_execz .LBB0_21
; %bb.20:
	v_lshlrev_b32_e32 v68, 3, v114
	ds_write2_b64 v68, v[64:65], v[66:67] offset1:1
	ds_write_b64 v68, v[48:49] offset:16
.LBB0_21:
	s_or_b32 exec_lo, exec_lo, s2
	s_waitcnt lgkmcnt(0)
	s_barrier
	buffer_gl0_inv
	s_and_saveexec_b32 s2, s0
	s_cbranch_execz .LBB0_23
; %bb.22:
	v_add_nc_u32_e32 v48, 0x1400, v106
	v_add_nc_u32_e32 v49, 0x800, v106
	ds_read2_b64 v[56:59], v48 offset0:32 offset1:200
	v_add_nc_u32_e32 v48, 0x1e00, v106
	ds_read2_b64 v[60:63], v49 offset0:80 offset1:248
	v_add_nc_u32_e32 v49, 0x2800, v106
	ds_read2_b64 v[52:55], v106 offset1:168
	ds_read_b64 v[100:101], v106 offset:13440
	ds_read2_b64 v[64:67], v48 offset0:48 offset1:216
	ds_read2_b64 v[48:51], v49 offset0:64 offset1:232
.LBB0_23:
	s_or_b32 exec_lo, exec_lo, s2
	s_waitcnt lgkmcnt(3)
	v_mul_f32_e32 v68, v29, v55
	v_mul_f32_e32 v102, v29, v54
	;; [unrolled: 1-line block ×4, first 2 shown]
	s_waitcnt lgkmcnt(0)
	v_fmac_f32_e32 v68, v28, v54
	v_fma_f32 v102, v28, v55, -v102
	v_mul_f32_e32 v28, v17, v63
	v_mul_f32_e32 v54, v17, v62
	v_fmac_f32_e32 v29, v30, v60
	v_mul_f32_e32 v17, v19, v57
	v_fma_f32 v30, v30, v61, -v31
	v_fmac_f32_e32 v28, v16, v62
	v_mul_f32_e32 v31, v19, v56
	v_fma_f32 v19, v16, v63, -v54
	v_mul_f32_e32 v16, v5, v59
	v_mul_f32_e32 v5, v5, v58
	v_fmac_f32_e32 v17, v18, v56
	v_fma_f32 v31, v18, v57, -v31
	v_mul_f32_e32 v57, v1, v67
	v_fmac_f32_e32 v16, v4, v58
	v_fma_f32 v55, v4, v59, -v5
	v_mul_f32_e32 v4, v11, v100
	v_mul_f32_e32 v11, v11, v101
	;; [unrolled: 1-line block ×4, first 2 shown]
	v_fmac_f32_e32 v57, v0, v66
	v_fma_f32 v54, v10, v101, -v4
	v_fmac_f32_e32 v11, v10, v100
	v_fma_f32 v59, v0, v67, -v1
	v_mul_f32_e32 v10, v9, v51
	v_mul_f32_e32 v1, v9, v50
	v_sub_f32_e32 v125, v102, v54
	v_fmac_f32_e32 v56, v2, v48
	v_mul_f32_e32 v0, v3, v48
	v_fmac_f32_e32 v10, v8, v50
	v_fma_f32 v8, v8, v51, -v1
	v_add_f32_e32 v115, v11, v68
	v_mul_f32_e32 v48, 0xbf0a6770, v125
	v_add_f32_e32 v121, v54, v102
	v_mul_f32_e32 v18, v7, v65
	v_sub_f32_e32 v136, v30, v8
	v_mul_f32_e32 v7, v7, v64
	v_fma_f32 v9, v2, v49, -v0
	v_fma_f32 v0, 0x3f575c64, v115, -v48
	v_sub_f32_e32 v133, v68, v11
	v_mul_f32_e32 v49, 0x3f575c64, v121
	v_mul_f32_e32 v62, 0x3ed4b147, v121
	v_add_f32_e32 v130, v8, v30
	v_add_f32_e32 v126, v10, v29
	v_mul_f32_e32 v50, 0xbf68dda4, v136
	v_fma_f32 v58, v6, v65, -v7
	v_add_f32_e32 v0, v52, v0
	v_mul_f32_e32 v60, 0xbf68dda4, v125
	v_mul_f32_e32 v65, 0xbf7d64f0, v125
	v_fmamk_f32 v1, v133, 0xbf0a6770, v49
	v_fmamk_f32 v3, v133, 0xbf68dda4, v62
	v_mul_f32_e32 v104, 0xbf4178ce, v125
	v_sub_f32_e32 v142, v29, v10
	v_mul_f32_e32 v51, 0x3ed4b147, v130
	v_fma_f32 v61, 0x3ed4b147, v126, -v50
	v_mul_f32_e32 v100, 0xbf27a4f4, v130
	v_fmac_f32_e32 v18, v6, v64
	v_mul_f32_e32 v67, 0xbe11bafb, v121
	v_fma_f32 v2, 0x3ed4b147, v115, -v60
	v_fma_f32 v4, 0xbe11bafb, v115, -v65
	v_add_f32_e32 v1, v53, v1
	v_add_f32_e32 v3, v53, v3
	v_mul_f32_e32 v123, 0xbf27a4f4, v121
	v_fma_f32 v6, 0xbf27a4f4, v115, -v104
	v_mul_f32_e32 v64, 0xbf4178ce, v136
	v_fmamk_f32 v63, v142, 0xbf68dda4, v51
	v_add_f32_e32 v0, v61, v0
	v_mul_f32_e32 v105, 0x3e903f40, v136
	v_fmamk_f32 v61, v142, 0xbf4178ce, v100
	v_mul_f32_e32 v124, 0x3f7d64f0, v136
	v_fmamk_f32 v5, v133, 0xbf7d64f0, v67
	v_add_f32_e32 v2, v52, v2
	v_add_f32_e32 v4, v52, v4
	v_fmamk_f32 v7, v133, 0xbf4178ce, v123
	v_add_f32_e32 v6, v52, v6
	v_fma_f32 v66, 0xbf27a4f4, v126, -v64
	v_add_f32_e32 v1, v63, v1
	v_mul_f32_e32 v119, 0xbf75a155, v130
	v_fma_f32 v63, 0xbf75a155, v126, -v105
	v_mul_f32_e32 v129, 0xbe11bafb, v130
	v_add_f32_e32 v3, v61, v3
	v_fma_f32 v61, 0xbe11bafb, v126, -v124
	v_sub_f32_e32 v145, v19, v9
	v_add_f32_e32 v5, v53, v5
	v_add_f32_e32 v7, v53, v7
	;; [unrolled: 1-line block ×3, first 2 shown]
	v_fmamk_f32 v66, v142, 0x3e903f40, v119
	v_add_f32_e32 v4, v63, v4
	v_fmamk_f32 v63, v142, 0x3f7d64f0, v129
	v_add_f32_e32 v6, v61, v6
	v_add_f32_e32 v137, v9, v19
	;; [unrolled: 1-line block ×3, first 2 shown]
	v_mul_f32_e32 v61, 0xbf7d64f0, v145
	v_add_f32_e32 v5, v66, v5
	v_add_f32_e32 v7, v63, v7
	v_sub_f32_e32 v148, v28, v56
	v_mul_f32_e32 v63, 0xbe11bafb, v137
	v_mul_f32_e32 v118, 0xbf75a155, v137
	v_fma_f32 v66, 0xbe11bafb, v132, -v61
	v_mul_f32_e32 v122, 0x3f68dda4, v145
	v_mul_f32_e32 v103, 0x3e903f40, v145
	v_fmamk_f32 v101, v148, 0xbf7d64f0, v63
	v_fmamk_f32 v114, v148, 0x3e903f40, v118
	v_add_f32_e32 v0, v66, v0
	v_fma_f32 v66, 0x3ed4b147, v132, -v122
	v_mul_f32_e32 v128, 0x3ed4b147, v137
	v_sub_f32_e32 v152, v31, v59
	v_mul_f32_e32 v141, 0x3f575c64, v137
	v_add_f32_e32 v146, v59, v31
	v_fma_f32 v113, 0xbf75a155, v132, -v103
	v_add_f32_e32 v1, v101, v1
	v_add_f32_e32 v3, v114, v3
	;; [unrolled: 1-line block ×3, first 2 shown]
	v_mul_f32_e32 v135, 0xbf0a6770, v145
	v_fmamk_f32 v101, v148, 0x3f68dda4, v128
	v_add_f32_e32 v143, v57, v17
	v_mul_f32_e32 v66, 0xbf4178ce, v152
	v_fmamk_f32 v114, v148, 0xbf0a6770, v141
	v_sub_f32_e32 v155, v17, v57
	v_mul_f32_e32 v134, 0x3f575c64, v146
	v_add_f32_e32 v2, v113, v2
	v_fma_f32 v113, 0x3f575c64, v132, -v135
	v_add_f32_e32 v5, v101, v5
	v_fma_f32 v117, 0xbf27a4f4, v143, -v66
	v_add_f32_e32 v7, v114, v7
	v_mul_f32_e32 v101, 0xbf27a4f4, v146
	v_mul_f32_e32 v114, 0x3f7d64f0, v152
	;; [unrolled: 1-line block ×3, first 2 shown]
	v_fmamk_f32 v139, v155, 0xbf0a6770, v134
	v_add_f32_e32 v6, v113, v6
	v_add_f32_e32 v0, v117, v0
	v_mul_f32_e32 v131, 0xbf0a6770, v152
	v_fmamk_f32 v113, v155, 0xbf4178ce, v101
	v_fma_f32 v117, 0xbe11bafb, v143, -v114
	v_fmamk_f32 v120, v155, 0x3f7d64f0, v127
	v_add_f32_e32 v159, v139, v5
	v_mul_f32_e32 v139, 0xbe903f40, v152
	v_sub_f32_e32 v154, v55, v58
	v_fma_f32 v138, 0x3f575c64, v143, -v131
	v_add_f32_e32 v1, v113, v1
	v_add_f32_e32 v140, v117, v2
	;; [unrolled: 1-line block ×5, first 2 shown]
	v_mul_f32_e32 v113, 0xbe903f40, v154
	v_fma_f32 v2, 0xbf75a155, v143, -v139
	v_mul_f32_e32 v120, 0x3f0a6770, v154
	v_add_f32_e32 v158, v138, v4
	v_mul_f32_e32 v149, 0xbf75a155, v146
	v_sub_f32_e32 v156, v16, v18
	v_mul_f32_e32 v117, 0xbf75a155, v151
	v_fma_f32 v4, 0xbf75a155, v150, -v113
	v_add_f32_e32 v160, v2, v6
	v_fma_f32 v6, 0x3f575c64, v150, -v120
	v_fmamk_f32 v3, v155, 0xbe903f40, v149
	v_fmamk_f32 v5, v156, 0xbe903f40, v117
	v_add_f32_e32 v2, v4, v0
	v_mul_f32_e32 v138, 0x3f575c64, v151
	v_add_f32_e32 v4, v6, v140
	v_mul_f32_e32 v140, 0xbf4178ce, v154
	v_mul_f32_e32 v144, 0xbf27a4f4, v151
	;; [unrolled: 1-line block ×4, first 2 shown]
	v_add_f32_e32 v161, v3, v7
	v_add_f32_e32 v3, v5, v1
	v_fmamk_f32 v0, v156, 0x3f0a6770, v138
	v_fma_f32 v1, 0xbf27a4f4, v150, -v140
	v_fmamk_f32 v7, v156, 0xbf4178ce, v144
	v_fma_f32 v162, 0x3ed4b147, v150, -v147
	v_fmamk_f32 v163, v156, 0x3f68dda4, v153
	v_add_f32_e32 v5, v0, v157
	v_add_f32_e32 v6, v1, v158
	;; [unrolled: 1-line block ×5, first 2 shown]
	s_barrier
	buffer_gl0_inv
	s_and_saveexec_b32 s2, s0
	s_cbranch_execz .LBB0_25
; %bb.24:
	v_mul_f32_e32 v158, 0xbf0a6770, v133
	v_mul_f32_e32 v160, 0xbf68dda4, v133
	;; [unrolled: 1-line block ×9, first 2 shown]
	v_fmamk_f32 v194, v121, 0xbf75a155, v133
	v_mul_f32_e32 v142, 0x3f0a6770, v142
	v_mul_f32_e32 v125, 0xbe903f40, v125
	v_mul_f32_e32 v174, 0xbf7d64f0, v148
	v_mul_f32_e32 v176, 0x3e903f40, v148
	v_mul_f32_e32 v178, 0x3f68dda4, v148
	v_mul_f32_e32 v180, 0xbf0a6770, v148
	v_add_f32_e32 v194, v53, v194
	v_fmamk_f32 v197, v130, 0x3f575c64, v142
	v_mul_f32_e32 v148, 0xbf4178ce, v148
	v_fma_f32 v199, 0xbf75a155, v115, -v125
	v_mul_f32_e32 v136, 0x3f0a6770, v136
	v_mul_f32_e32 v182, 0xbf4178ce, v155
	;; [unrolled: 1-line block ×5, first 2 shown]
	v_add_f32_e32 v194, v197, v194
	v_fmamk_f32 v197, v137, 0xbf27a4f4, v148
	v_mul_f32_e32 v155, 0x3f68dda4, v155
	v_add_f32_e32 v199, v52, v199
	v_fma_f32 v200, 0x3f575c64, v126, -v136
	v_mul_f32_e32 v145, 0xbf4178ce, v145
	v_add_f32_e32 v194, v197, v194
	v_fmamk_f32 v197, v146, 0x3ed4b147, v155
	v_fma_f32 v121, 0xbf75a155, v121, -v133
	v_add_f32_e32 v199, v200, v199
	v_fma_f32 v200, 0xbf27a4f4, v132, -v145
	v_fma_f32 v130, 0x3f575c64, v130, -v142
	v_add_f32_e32 v133, v197, v194
	v_fmac_f32_e32 v125, 0xbf75a155, v115
	v_mul_f32_e32 v190, 0xbe903f40, v156
	v_add_f32_e32 v197, v200, v199
	v_add_f32_e32 v200, v53, v121
	v_mul_f32_e32 v192, 0x3f0a6770, v156
	v_mul_f32_e32 v195, 0xbf4178ce, v156
	v_mul_f32_e32 v198, 0x3f68dda4, v156
	v_mul_f32_e32 v156, 0xbf7d64f0, v156
	v_add_f32_e32 v130, v130, v200
	v_fma_f32 v137, 0xbf27a4f4, v137, -v148
	v_add_f32_e32 v125, v52, v125
	v_fmac_f32_e32 v136, 0x3f575c64, v126
	v_sub_f32_e32 v123, v123, v164
	v_mul_f32_e32 v163, 0xbf27a4f4, v115
	v_mul_f32_e32 v152, 0x3f68dda4, v152
	v_fmamk_f32 v194, v151, 0xbe11bafb, v156
	v_add_f32_e32 v130, v137, v130
	v_fma_f32 v137, 0x3ed4b147, v146, -v155
	v_add_f32_e32 v125, v136, v125
	v_fmac_f32_e32 v145, 0xbf27a4f4, v132
	v_add_f32_e32 v123, v53, v123
	v_sub_f32_e32 v129, v129, v172
	v_add_f32_e32 v102, v102, v53
	v_add_f32_e32 v68, v52, v68
	v_mul_f32_e32 v161, 0xbe11bafb, v115
	v_mul_f32_e32 v171, 0xbe11bafb, v126
	v_mul_f32_e32 v173, 0xbe11bafb, v132
	v_mul_f32_e32 v175, 0xbf75a155, v132
	v_mul_f32_e32 v177, 0x3ed4b147, v132
	v_mul_f32_e32 v179, 0x3f575c64, v132
	v_fma_f32 v199, 0x3ed4b147, v143, -v152
	v_add_f32_e32 v121, v194, v133
	v_mul_f32_e32 v133, 0xbf7d64f0, v154
	v_add_f32_e32 v130, v137, v130
	v_fma_f32 v132, 0xbe11bafb, v151, -v156
	v_add_f32_e32 v136, v145, v125
	v_fmac_f32_e32 v152, 0x3ed4b147, v143
	v_add_f32_e32 v123, v129, v123
	v_sub_f32_e32 v129, v141, v180
	v_add_f32_e32 v104, v163, v104
	v_add_f32_e32 v30, v30, v102
	;; [unrolled: 1-line block ×3, first 2 shown]
	v_mul_f32_e32 v165, 0x3ed4b147, v126
	v_mul_f32_e32 v167, 0xbf27a4f4, v126
	v_mul_f32_e32 v169, 0xbf75a155, v126
	v_fma_f32 v126, 0xbe11bafb, v150, -v133
	v_add_f32_e32 v125, v132, v130
	v_add_f32_e32 v130, v152, v136
	v_fmac_f32_e32 v133, 0xbe11bafb, v150
	v_add_f32_e32 v123, v129, v123
	v_sub_f32_e32 v129, v149, v188
	v_add_f32_e32 v104, v52, v104
	v_add_f32_e32 v132, v171, v124
	v_sub_f32_e32 v67, v67, v162
	v_add_f32_e32 v65, v161, v65
	v_add_f32_e32 v19, v19, v30
	;; [unrolled: 1-line block ×3, first 2 shown]
	v_mul_f32_e32 v187, 0xbf75a155, v143
	v_add_f32_e32 v124, v133, v130
	v_add_f32_e32 v123, v129, v123
	v_sub_f32_e32 v129, v153, v198
	v_add_f32_e32 v104, v132, v104
	v_add_f32_e32 v130, v179, v135
	;; [unrolled: 1-line block ×3, first 2 shown]
	v_sub_f32_e32 v119, v119, v170
	v_add_f32_e32 v65, v52, v65
	v_add_f32_e32 v105, v169, v105
	v_sub_f32_e32 v62, v62, v160
	v_mul_f32_e32 v157, 0x3f575c64, v115
	v_sub_f32_e32 v49, v49, v158
	v_add_f32_e32 v19, v31, v19
	v_add_f32_e32 v17, v17, v28
	v_mul_f32_e32 v159, 0x3ed4b147, v115
	v_mul_f32_e32 v185, 0x3f575c64, v143
	v_add_f32_e32 v67, v129, v123
	v_add_f32_e32 v104, v130, v104
	;; [unrolled: 1-line block ×4, first 2 shown]
	v_sub_f32_e32 v128, v128, v178
	v_add_f32_e32 v65, v105, v65
	v_add_f32_e32 v105, v177, v122
	;; [unrolled: 1-line block ×3, first 2 shown]
	v_sub_f32_e32 v100, v100, v168
	v_add_f32_e32 v49, v53, v49
	v_sub_f32_e32 v51, v51, v166
	v_add_f32_e32 v30, v157, v48
	v_add_f32_e32 v19, v55, v19
	;; [unrolled: 1-line block ×3, first 2 shown]
	v_mul_f32_e32 v193, 0xbf27a4f4, v150
	v_add_f32_e32 v104, v123, v104
	v_add_f32_e32 v119, v128, v119
	v_sub_f32_e32 v123, v134, v186
	v_add_f32_e32 v65, v105, v65
	v_add_f32_e32 v105, v185, v131
	;; [unrolled: 1-line block ×3, first 2 shown]
	v_sub_f32_e32 v100, v118, v176
	v_add_f32_e32 v60, v159, v60
	v_add_f32_e32 v48, v51, v49
	v_sub_f32_e32 v28, v63, v174
	v_add_f32_e32 v30, v52, v30
	v_add_f32_e32 v31, v165, v50
	;; [unrolled: 1-line block ×8, first 2 shown]
	v_sub_f32_e32 v100, v127, v184
	v_add_f32_e32 v60, v52, v60
	v_add_f32_e32 v127, v167, v64
	v_mul_f32_e32 v181, 0xbf27a4f4, v143
	v_add_f32_e32 v17, v28, v48
	v_sub_f32_e32 v28, v101, v182
	v_add_f32_e32 v30, v31, v30
	v_add_f32_e32 v18, v173, v61
	;; [unrolled: 1-line block ×4, first 2 shown]
	v_mul_f32_e32 v183, 0xbe11bafb, v143
	v_add_f32_e32 v64, v123, v105
	v_add_f32_e32 v62, v100, v62
	v_sub_f32_e32 v100, v138, v192
	v_add_f32_e32 v105, v127, v60
	v_add_f32_e32 v103, v175, v103
	v_mul_f32_e32 v189, 0xbf75a155, v150
	v_add_f32_e32 v17, v28, v17
	v_add_f32_e32 v18, v18, v30
	v_add_f32_e32 v28, v181, v66
	v_add_f32_e32 v9, v9, v19
	v_add_f32_e32 v16, v56, v16
	v_mov_b32_e32 v19, 33
	v_mul_f32_e32 v191, 0x3f575c64, v150
	v_add_f32_e32 v60, v100, v62
	v_add_f32_e32 v62, v103, v105
	;; [unrolled: 1-line block ×3, first 2 shown]
	v_mul_f32_e32 v196, 0x3ed4b147, v150
	v_sub_f32_e32 v30, v117, v190
	v_add_f32_e32 v18, v28, v18
	v_add_f32_e32 v28, v189, v113
	;; [unrolled: 1-line block ×4, first 2 shown]
	v_mul_u32_u24_sdwa v19, v111, v19 dst_sel:DWORD dst_unused:UNUSED_PAD src0_sel:WORD_0 src1_sel:DWORD
	v_sub_f32_e32 v118, v144, v195
	v_add_f32_e32 v29, v68, v62
	v_add_f32_e32 v31, v191, v120
	;; [unrolled: 1-line block ×8, first 2 shown]
	v_add_lshl_u32 v10, v19, v110, 3
	v_add_f32_e32 v65, v118, v119
	v_add_f32_e32 v59, v31, v29
	;; [unrolled: 1-line block ×4, first 2 shown]
	ds_write2_b64 v10, v[16:17], v[8:9] offset1:3
	ds_write2_b64 v10, v[59:60], v[64:65] offset0:6 offset1:9
	ds_write2_b64 v10, v[66:67], v[124:125] offset0:12 offset1:15
	;; [unrolled: 1-line block ×4, first 2 shown]
	ds_write_b64 v10, v[2:3] offset:240
.LBB0_25:
	s_or_b32 exec_lo, exec_lo, s2
	s_waitcnt lgkmcnt(0)
	s_barrier
	buffer_gl0_inv
	ds_read_b64 v[8:9], v106
	ds_read_b64 v[48:49], v106 offset:2112
	ds_read_b64 v[30:31], v106 offset:4224
	;; [unrolled: 1-line block ×6, first 2 shown]
	s_and_saveexec_b32 s0, s1
	s_cbranch_execz .LBB0_27
; %bb.26:
	ds_read_b64 v[0:1], v106 offset:1848
	ds_read_b64 v[6:7], v106 offset:3960
	;; [unrolled: 1-line block ×7, first 2 shown]
.LBB0_27:
	s_or_b32 exec_lo, exec_lo, s0
	s_waitcnt lgkmcnt(5)
	v_mul_f32_e32 v50, v41, v49
	v_mul_f32_e32 v41, v41, v48
	s_waitcnt lgkmcnt(4)
	v_mul_f32_e32 v51, v43, v31
	v_mul_f32_e32 v43, v43, v30
	s_waitcnt lgkmcnt(0)
	v_fmac_f32_e32 v50, v40, v48
	v_fma_f32 v40, v40, v49, -v41
	v_mul_f32_e32 v41, v37, v29
	v_mul_f32_e32 v37, v37, v28
	;; [unrolled: 1-line block ×3, first 2 shown]
	v_fmac_f32_e32 v51, v42, v30
	v_fma_f32 v30, v42, v31, -v43
	v_fmac_f32_e32 v41, v36, v28
	v_fma_f32 v28, v36, v29, -v37
	v_mul_f32_e32 v29, v35, v19
	v_mul_f32_e32 v31, v35, v18
	;; [unrolled: 1-line block ×4, first 2 shown]
	v_fmac_f32_e32 v48, v38, v16
	v_mul_f32_e32 v16, v39, v16
	v_fmac_f32_e32 v29, v34, v18
	v_fma_f32 v18, v34, v19, -v31
	v_fmac_f32_e32 v35, v32, v10
	v_fma_f32 v10, v32, v11, -v33
	v_fma_f32 v16, v38, v17, -v16
	v_add_f32_e32 v11, v50, v29
	v_add_f32_e32 v17, v40, v18
	v_sub_f32_e32 v19, v50, v29
	v_add_f32_e32 v29, v51, v35
	v_add_f32_e32 v31, v30, v10
	v_sub_f32_e32 v32, v51, v35
	v_sub_f32_e32 v10, v30, v10
	v_add_f32_e32 v30, v41, v48
	v_add_f32_e32 v33, v28, v16
	v_sub_f32_e32 v34, v48, v41
	v_sub_f32_e32 v16, v16, v28
	v_add_f32_e32 v28, v29, v11
	v_add_f32_e32 v35, v31, v17
	v_sub_f32_e32 v18, v40, v18
	v_sub_f32_e32 v36, v29, v11
	v_sub_f32_e32 v37, v31, v17
	;; [unrolled: 1-line block ×6, first 2 shown]
	v_add_f32_e32 v38, v34, v32
	v_add_f32_e32 v39, v16, v10
	v_sub_f32_e32 v40, v34, v32
	v_sub_f32_e32 v41, v16, v10
	v_add_f32_e32 v28, v30, v28
	v_add_f32_e32 v30, v33, v35
	v_sub_f32_e32 v32, v32, v19
	v_sub_f32_e32 v10, v10, v18
	;; [unrolled: 1-line block ×4, first 2 shown]
	v_add_f32_e32 v19, v38, v19
	v_add_f32_e32 v18, v39, v18
	;; [unrolled: 1-line block ×4, first 2 shown]
	v_mul_f32_e32 v11, 0x3f4a47b2, v11
	v_mul_f32_e32 v17, 0x3f4a47b2, v17
	;; [unrolled: 1-line block ×8, first 2 shown]
	v_fmamk_f32 v28, v28, 0xbf955555, v8
	v_fmamk_f32 v30, v30, 0xbf955555, v9
	;; [unrolled: 1-line block ×4, first 2 shown]
	v_fma_f32 v33, 0x3f3bfb3b, v36, -v33
	v_fma_f32 v35, 0x3f3bfb3b, v37, -v35
	;; [unrolled: 1-line block ×4, first 2 shown]
	v_fmamk_f32 v36, v34, 0xbeae86e6, v38
	v_fmamk_f32 v37, v16, 0xbeae86e6, v39
	v_fma_f32 v32, 0xbf5ff5aa, v32, -v38
	v_fma_f32 v38, 0xbf5ff5aa, v10, -v39
	;; [unrolled: 1-line block ×4, first 2 shown]
	v_add_f32_e32 v40, v29, v28
	v_add_f32_e32 v41, v31, v30
	v_fmac_f32_e32 v36, 0xbee1c552, v19
	v_fmac_f32_e32 v37, 0xbee1c552, v18
	v_add_f32_e32 v29, v33, v28
	v_add_f32_e32 v31, v35, v30
	;; [unrolled: 1-line block ×4, first 2 shown]
	v_fmac_f32_e32 v32, 0xbee1c552, v19
	v_fmac_f32_e32 v39, 0xbee1c552, v18
	;; [unrolled: 1-line block ×4, first 2 shown]
	v_add_f32_e32 v10, v37, v40
	v_sub_f32_e32 v11, v41, v36
	v_add_f32_e32 v16, v39, v33
	v_sub_f32_e32 v17, v35, v34
	v_sub_f32_e32 v18, v29, v38
	v_add_f32_e32 v19, v32, v31
	v_add_f32_e32 v28, v38, v29
	v_sub_f32_e32 v29, v31, v32
	v_sub_f32_e32 v30, v33, v39
	v_add_f32_e32 v31, v34, v35
	v_sub_f32_e32 v32, v40, v37
	v_add_f32_e32 v33, v36, v41
	s_barrier
	buffer_gl0_inv
	ds_write2_b64 v116, v[8:9], v[10:11] offset1:33
	ds_write2_b64 v116, v[16:17], v[18:19] offset0:66 offset1:99
	ds_write2_b64 v116, v[28:29], v[30:31] offset0:132 offset1:165
	ds_write_b64 v116, v[32:33] offset:1584
	s_and_saveexec_b32 s0, s1
	s_cbranch_execz .LBB0_29
; %bb.28:
	v_mul_f32_e32 v10, v21, v7
	v_mul_f32_e32 v16, v23, v5
	;; [unrolled: 1-line block ×6, first 2 shown]
	v_fmac_f32_e32 v10, v20, v6
	v_fmac_f32_e32 v16, v22, v4
	v_mul_f32_e32 v6, v21, v6
	v_mul_f32_e32 v19, v25, v97
	;; [unrolled: 1-line block ×4, first 2 shown]
	v_fmac_f32_e32 v8, v14, v94
	v_fmac_f32_e32 v9, v12, v2
	;; [unrolled: 1-line block ×3, first 2 shown]
	v_fma_f32 v17, v26, v99, -v17
	v_fma_f32 v6, v20, v7, -v6
	v_mul_f32_e32 v2, v13, v2
	v_mul_f32_e32 v7, v15, v94
	v_fma_f32 v13, v24, v97, -v21
	v_fma_f32 v4, v22, v5, -v4
	v_fmac_f32_e32 v19, v24, v96
	v_sub_f32_e32 v18, v8, v9
	v_fma_f32 v2, v12, v3, -v2
	v_fma_f32 v5, v14, v95, -v7
	v_add_f32_e32 v7, v17, v6
	v_add_f32_e32 v12, v13, v4
	v_sub_f32_e32 v14, v16, v19
	v_sub_f32_e32 v15, v10, v11
	v_add_f32_e32 v10, v11, v10
	v_add_f32_e32 v8, v9, v8
	;; [unrolled: 1-line block ×4, first 2 shown]
	v_sub_f32_e32 v21, v18, v14
	v_sub_f32_e32 v23, v15, v18
	v_add_f32_e32 v18, v18, v14
	v_add_f32_e32 v9, v19, v16
	v_sub_f32_e32 v16, v10, v8
	v_sub_f32_e32 v2, v5, v2
	;; [unrolled: 1-line block ×5, first 2 shown]
	v_add_f32_e32 v20, v3, v20
	v_sub_f32_e32 v3, v3, v12
	v_add_f32_e32 v18, v18, v15
	v_add_f32_e32 v19, v9, v10
	v_mul_f32_e32 v13, 0x3f4a47b2, v16
	v_sub_f32_e32 v16, v2, v4
	v_sub_f32_e32 v14, v14, v15
	v_sub_f32_e32 v15, v6, v2
	v_add_f32_e32 v2, v2, v4
	v_sub_f32_e32 v4, v4, v6
	v_mul_f32_e32 v21, 0x3f08b237, v21
	v_mul_f32_e32 v22, 0x3f4a47b2, v22
	;; [unrolled: 1-line block ×3, first 2 shown]
	v_sub_f32_e32 v5, v8, v9
	v_add_f32_e32 v8, v8, v19
	v_mul_f32_e32 v16, 0x3f08b237, v16
	v_mul_f32_e32 v19, 0xbf5ff5aa, v14
	v_sub_f32_e32 v7, v12, v7
	v_sub_f32_e32 v9, v9, v10
	v_mul_f32_e32 v10, 0xbf5ff5aa, v4
	v_add_f32_e32 v1, v1, v20
	v_add_f32_e32 v0, v0, v8
	v_fmamk_f32 v26, v15, 0xbeae86e6, v16
	v_fma_f32 v12, 0x3eae86e6, v23, -v19
	v_fma_f32 v19, 0xbf3bfb3b, v7, -v22
	v_add_f32_e32 v2, v2, v6
	v_fma_f32 v10, 0x3eae86e6, v15, -v10
	v_fma_f32 v7, 0x3f3bfb3b, v7, -v11
	;; [unrolled: 1-line block ×4, first 2 shown]
	v_mul_f32_e32 v17, 0x3d64c772, v5
	v_fmamk_f32 v24, v23, 0xbeae86e6, v21
	v_fmamk_f32 v25, v3, 0x3d64c772, v22
	;; [unrolled: 1-line block ×5, first 2 shown]
	v_fmac_f32_e32 v26, 0xbee1c552, v2
	v_fmac_f32_e32 v10, 0xbee1c552, v2
	;; [unrolled: 1-line block ×3, first 2 shown]
	v_mov_b32_e32 v2, 3
	v_fma_f32 v13, 0xbf3bfb3b, v9, -v13
	v_fma_f32 v4, 0x3f3bfb3b, v9, -v17
	v_fmac_f32_e32 v24, 0xbee1c552, v18
	v_add_f32_e32 v25, v25, v20
	v_fmac_f32_e32 v12, 0xbee1c552, v18
	v_add_f32_e32 v6, v19, v20
	v_add_f32_e32 v19, v5, v8
	v_add_f32_e32 v9, v7, v20
	v_fmac_f32_e32 v11, 0xbee1c552, v18
	v_lshlrev_b32_sdwa v17, v2, v112 dst_sel:DWORD dst_unused:UNUSED_PAD src0_sel:DWORD src1_sel:WORD_0
	v_add_f32_e32 v15, v13, v8
	v_add_f32_e32 v16, v4, v8
	;; [unrolled: 1-line block ×3, first 2 shown]
	v_sub_f32_e32 v7, v9, v11
	v_add_f32_e32 v9, v11, v9
	v_sub_f32_e32 v11, v6, v12
	v_sub_f32_e32 v13, v25, v24
	v_add_f32_e32 v12, v26, v19
	v_add_nc_u32_e32 v18, 0x3000, v17
	v_sub_f32_e32 v4, v15, v10
	v_sub_f32_e32 v8, v16, v14
	v_add_f32_e32 v10, v10, v15
	v_add_f32_e32 v6, v14, v16
	;; [unrolled: 1-line block ×3, first 2 shown]
	v_sub_f32_e32 v2, v19, v26
	ds_write2_b64 v18, v[0:1], v[12:13] offset0:81 offset1:114
	ds_write2_b64 v18, v[10:11], v[8:9] offset0:147 offset1:180
	;; [unrolled: 1-line block ×3, first 2 shown]
	ds_write_b64 v17, v[2:3] offset:14520
.LBB0_29:
	s_or_b32 exec_lo, exec_lo, s0
	v_add_nc_u32_e32 v16, 0xe00, v106
	v_add_nc_u32_e32 v17, 0x1c80, v106
	;; [unrolled: 1-line block ×3, first 2 shown]
	s_waitcnt lgkmcnt(0)
	s_barrier
	buffer_gl0_inv
	ds_read2_b64 v[0:3], v16 offset0:14 offset1:245
	ds_read2_b64 v[4:7], v17 offset0:12 offset1:243
	ds_read2_b64 v[8:11], v18 offset0:10 offset1:241
	ds_read2_b64 v[12:15], v106 offset1:231
	s_waitcnt lgkmcnt(0)
	s_barrier
	buffer_gl0_inv
	s_mov_b32 s2, 0x4046ed29
	s_mov_b32 s3, 0x3f41bb4a
	s_mul_hi_u32 s1, s8, 0x268
	v_mul_f32_e32 v19, v45, v1
	v_mul_f32_e32 v20, v45, v0
	;; [unrolled: 1-line block ×12, first 2 shown]
	v_fmac_f32_e32 v19, v44, v0
	v_fma_f32 v0, v44, v1, -v20
	v_fmac_f32_e32 v21, v46, v4
	v_fma_f32 v1, v46, v5, -v22
	;; [unrolled: 2-line block ×6, first 2 shown]
	v_sub_f32_e32 v6, v12, v21
	v_sub_f32_e32 v7, v19, v23
	;; [unrolled: 1-line block ×5, first 2 shown]
	v_fma_f32 v4, v12, 2.0, -v6
	v_fma_f32 v8, v19, 2.0, -v7
	v_sub_f32_e32 v19, v15, v2
	v_sub_f32_e32 v11, v25, v29
	v_fma_f32 v9, v13, 2.0, -v20
	v_fma_f32 v10, v0, 2.0, -v1
	v_sub_f32_e32 v12, v3, v5
	v_sub_f32_e32 v0, v4, v8
	v_add_f32_e32 v2, v6, v1
	v_fma_f32 v13, v14, 2.0, -v21
	v_sub_f32_e32 v1, v9, v10
	v_fma_f32 v14, v15, 2.0, -v19
	v_fma_f32 v8, v25, 2.0, -v11
	;; [unrolled: 1-line block ×3, first 2 shown]
	v_sub_f32_e32 v3, v20, v7
	v_fma_f32 v5, v9, 2.0, -v1
	v_sub_f32_e32 v11, v19, v11
	v_sub_f32_e32 v8, v13, v8
	;; [unrolled: 1-line block ×3, first 2 shown]
	v_add_f32_e32 v10, v21, v12
	v_fma_f32 v4, v4, 2.0, -v0
	v_fma_f32 v6, v6, 2.0, -v2
	;; [unrolled: 1-line block ×7, first 2 shown]
	ds_write2_b64 v106, v[4:5], v[6:7] offset1:231
	ds_write2_b64 v16, v[0:1], v[2:3] offset0:14 offset1:245
	ds_write2_b64 v17, v[12:13], v[14:15] offset0:12 offset1:243
	;; [unrolled: 1-line block ×3, first 2 shown]
	s_waitcnt lgkmcnt(0)
	s_barrier
	buffer_gl0_inv
	ds_read2_b64 v[0:3], v17 offset0:12 offset1:243
	ds_read2_b64 v[4:7], v18 offset0:10 offset1:241
	ds_read2_b64 v[8:11], v106 offset1:231
	ds_read2_b64 v[12:15], v16 offset0:14 offset1:245
	s_waitcnt lgkmcnt(3)
	v_mul_f32_e32 v17, v89, v1
	v_mul_f32_e32 v18, v89, v0
	;; [unrolled: 1-line block ×3, first 2 shown]
	s_waitcnt lgkmcnt(2)
	v_mul_f32_e32 v20, v91, v5
	v_mul_f32_e32 v21, v87, v7
	v_fmac_f32_e32 v17, v88, v0
	v_mul_f32_e32 v0, v93, v2
	v_fma_f32 v1, v88, v1, -v18
	v_mul_f32_e32 v18, v91, v4
	v_fmac_f32_e32 v19, v92, v2
	v_fmac_f32_e32 v20, v90, v4
	v_fma_f32 v3, v92, v3, -v0
	v_mul_f32_e32 v4, v87, v6
	v_fma_f32 v18, v90, v5, -v18
	s_waitcnt lgkmcnt(1)
	v_sub_f32_e32 v0, v8, v17
	v_sub_f32_e32 v1, v9, v1
	v_fmac_f32_e32 v21, v86, v6
	v_sub_f32_e32 v2, v10, v19
	v_fma_f32 v17, v86, v7, -v4
	v_sub_f32_e32 v3, v11, v3
	v_fma_f32 v4, v8, 2.0, -v0
	v_fma_f32 v5, v9, 2.0, -v1
	;; [unrolled: 1-line block ×3, first 2 shown]
	s_waitcnt lgkmcnt(0)
	v_sub_f32_e32 v8, v12, v20
	v_sub_f32_e32 v9, v13, v18
	;; [unrolled: 1-line block ×3, first 2 shown]
	v_fma_f32 v7, v11, 2.0, -v3
	v_sub_f32_e32 v11, v15, v17
	v_add_nc_u32_e32 v17, 0x2400, v106
	v_fma_f32 v12, v12, 2.0, -v8
	v_fma_f32 v13, v13, 2.0, -v9
	;; [unrolled: 1-line block ×4, first 2 shown]
	ds_write_b64 v106, v[0:1] offset:7392
	ds_write2_b64 v106, v[4:5], v[6:7] offset1:231
	ds_write2_b64 v17, v[2:3], v[8:9] offset0:3 offset1:234
	ds_write2_b64 v16, v[12:13], v[14:15] offset0:14 offset1:245
	ds_write_b64 v106, v[10:11] offset:12936
	s_waitcnt lgkmcnt(0)
	s_barrier
	buffer_gl0_inv
	ds_read2_b64 v[0:3], v106 offset1:231
	v_mad_u64_u32 v[12:13], null, s10, v71, 0
	v_mad_u64_u32 v[14:15], null, s8, v109, 0
	v_add_nc_u32_e32 v5, 0x1300, v106
	v_add_nc_u32_e32 v8, 0x2600, v106
	ds_read2_b64 v[8:11], v8 offset0:16 offset1:247
	s_waitcnt lgkmcnt(1)
	v_mul_f32_e32 v4, v75, v1
	v_mul_f32_e32 v18, v75, v0
	;; [unrolled: 1-line block ×4, first 2 shown]
	v_fmac_f32_e32 v4, v74, v0
	v_mov_b32_e32 v0, v13
	v_mov_b32_e32 v13, v15
	v_fma_f32 v15, v74, v1, -v18
	v_fmac_f32_e32 v23, v72, v2
	v_cvt_f64_f32_e32 v[16:17], v4
	ds_read2_b64 v[4:7], v5 offset0:8 offset1:239
	v_mad_u64_u32 v[0:1], null, s11, v71, v[0:1]
	v_mad_u64_u32 v[18:19], null, s9, v109, v[13:14]
	v_cvt_f64_f32_e32 v[19:20], v15
	s_waitcnt lgkmcnt(1)
	v_mul_f32_e32 v21, v77, v9
	v_mul_f32_e32 v22, v77, v8
	;; [unrolled: 1-line block ×3, first 2 shown]
	v_mov_b32_e32 v13, v0
	v_mov_b32_e32 v15, v18
	v_fmac_f32_e32 v21, v76, v8
	v_fma_f32 v8, v76, v9, -v22
	v_fma_f32 v22, v72, v3, -v24
	v_fmac_f32_e32 v28, v82, v10
	v_lshlrev_b64 v[14:15], 3, v[14:15]
	v_cvt_f64_f32_e32 v[2:3], v21
	v_cvt_f64_f32_e32 v[8:9], v8
	s_waitcnt lgkmcnt(0)
	v_mul_f32_e32 v18, v79, v5
	v_mul_f64 v[0:1], v[16:17], s[2:3]
	v_mul_f32_e32 v16, v79, v4
	v_mul_f32_e32 v26, v81, v6
	;; [unrolled: 1-line block ×3, first 2 shown]
	v_fmac_f32_e32 v18, v78, v4
	v_fma_f32 v27, v78, v5, -v16
	v_mul_f64 v[16:17], v[19:20], s[2:3]
	v_fmac_f32_e32 v25, v80, v6
	v_cvt_f64_f32_e32 v[4:5], v18
	v_cvt_f64_f32_e32 v[20:21], v23
	;; [unrolled: 1-line block ×3, first 2 shown]
	v_mul_f32_e32 v27, v83, v10
	v_cvt_f64_f32_e32 v[22:23], v22
	v_mul_f64 v[2:3], v[2:3], s[2:3]
	v_cvt_f32_f64_e32 v0, v[0:1]
	v_fma_f32 v1, v80, v7, -v26
	v_fma_f32 v26, v82, v11, -v27
	v_lshlrev_b64 v[6:7], 3, v[12:13]
	v_cvt_f64_f32_e32 v[10:11], v25
	v_cvt_f64_f32_e32 v[24:25], v28
	;; [unrolled: 1-line block ×4, first 2 shown]
	v_cvt_f32_f64_e32 v1, v[16:17]
	v_mul_f64 v[4:5], v[4:5], s[2:3]
	v_mul_f64 v[16:17], v[18:19], s[2:3]
	v_add_co_u32 v18, s0, s6, v6
	v_add_co_ci_u32_e64 v19, s0, s7, v7, s0
	v_mul_f64 v[6:7], v[8:9], s[2:3]
	v_mul_f64 v[8:9], v[20:21], s[2:3]
	v_add_co_u32 v14, s0, v18, v14
	v_add_co_ci_u32_e64 v15, s0, v19, v15, s0
	v_mul_f64 v[18:19], v[22:23], s[2:3]
	s_mul_i32 s0, s9, 0x268
	v_cvt_f32_f64_e32 v2, v[2:3]
	s_add_i32 s1, s1, s0
	v_mul_f64 v[10:11], v[10:11], s[2:3]
	v_mul_f64 v[20:21], v[24:25], s[2:3]
	;; [unrolled: 1-line block ×4, first 2 shown]
	s_mul_i32 s0, s8, 0x268
	v_cvt_f32_f64_e32 v4, v[4:5]
	s_lshl_b64 s[4:5], s[0:1], 3
	v_cvt_f32_f64_e32 v5, v[16:17]
	v_add_co_u32 v16, s0, v14, s4
	v_add_co_ci_u32_e64 v17, s0, s5, v15, s0
	s_mul_hi_u32 s0, s8, 0xfffffc17
	s_mul_i32 s1, s9, 0xfffffc17
	s_sub_i32 s0, s0, s8
	v_cvt_f32_f64_e32 v3, v[6:7]
	v_cvt_f32_f64_e32 v6, v[8:9]
	s_add_i32 s7, s0, s1
	s_mul_i32 s6, s8, 0xfffffc17
	v_cvt_f32_f64_e32 v7, v[18:19]
	s_lshl_b64 s[6:7], s[6:7], 3
	global_store_dwordx2 v[14:15], v[0:1], off
	v_cvt_f32_f64_e32 v8, v[10:11]
	v_cvt_f32_f64_e32 v10, v[20:21]
	;; [unrolled: 1-line block ×3, first 2 shown]
	v_add_co_u32 v12, s0, v16, s4
	v_add_co_ci_u32_e64 v13, s0, s5, v17, s0
	v_cvt_f32_f64_e32 v11, v[22:23]
	v_add_co_u32 v18, s0, v12, s6
	v_add_co_ci_u32_e64 v19, s0, s7, v13, s0
	v_add_co_u32 v20, s0, v18, s4
	v_add_co_ci_u32_e64 v21, s0, s5, v19, s0
	;; [unrolled: 2-line block ×3, first 2 shown]
	global_store_dwordx2 v[16:17], v[4:5], off
	global_store_dwordx2 v[12:13], v[2:3], off
	;; [unrolled: 1-line block ×5, first 2 shown]
	s_and_b32 exec_lo, exec_lo, vcc_lo
	s_cbranch_execz .LBB0_31
; %bb.30:
	v_add_co_u32 v2, vcc_lo, 0x800, v107
	v_add_co_ci_u32_e32 v3, vcc_lo, 0, v108, vcc_lo
	v_add_co_u32 v4, vcc_lo, 0x3000, v107
	v_add_co_ci_u32_e32 v5, vcc_lo, 0, v108, vcc_lo
	s_clause 0x2
	global_load_dwordx2 v[2:3], v[2:3], off offset:1648
	global_load_dwordx2 v[6:7], v[69:70], off offset:432
	;; [unrolled: 1-line block ×3, first 2 shown]
	ds_read_b64 v[8:9], v106 offset:3696
	ds_read_b64 v[10:11], v106 offset:8624
	;; [unrolled: 1-line block ×3, first 2 shown]
	v_add_co_u32 v0, vcc_lo, v0, s6
	v_add_co_ci_u32_e32 v1, vcc_lo, s7, v1, vcc_lo
	s_waitcnt vmcnt(2) lgkmcnt(2)
	v_mul_f32_e32 v14, v9, v3
	v_mul_f32_e32 v3, v8, v3
	s_waitcnt vmcnt(1) lgkmcnt(1)
	v_mul_f32_e32 v15, v11, v7
	v_mul_f32_e32 v7, v10, v7
	;; [unrolled: 3-line block ×3, first 2 shown]
	v_fmac_f32_e32 v14, v8, v2
	v_fma_f32 v8, v2, v9, -v3
	v_fmac_f32_e32 v15, v10, v6
	v_fma_f32 v9, v6, v11, -v7
	;; [unrolled: 2-line block ×3, first 2 shown]
	v_cvt_f64_f32_e32 v[2:3], v14
	v_cvt_f64_f32_e32 v[4:5], v8
	v_cvt_f64_f32_e32 v[6:7], v15
	v_cvt_f64_f32_e32 v[8:9], v9
	v_cvt_f64_f32_e32 v[10:11], v16
	v_cvt_f64_f32_e32 v[12:13], v12
	v_mul_f64 v[2:3], v[2:3], s[2:3]
	v_mul_f64 v[4:5], v[4:5], s[2:3]
	;; [unrolled: 1-line block ×6, first 2 shown]
	v_cvt_f32_f64_e32 v2, v[2:3]
	v_cvt_f32_f64_e32 v3, v[4:5]
	;; [unrolled: 1-line block ×6, first 2 shown]
	v_add_co_u32 v8, vcc_lo, v0, s4
	v_add_co_ci_u32_e32 v9, vcc_lo, s5, v1, vcc_lo
	v_add_co_u32 v10, vcc_lo, v8, s4
	v_add_co_ci_u32_e32 v11, vcc_lo, s5, v9, vcc_lo
	global_store_dwordx2 v[0:1], v[2:3], off
	global_store_dwordx2 v[8:9], v[4:5], off
	;; [unrolled: 1-line block ×3, first 2 shown]
.LBB0_31:
	s_endpgm
	.section	.rodata,"a",@progbits
	.p2align	6, 0x0
	.amdhsa_kernel bluestein_single_fwd_len1848_dim1_sp_op_CI_CI
		.amdhsa_group_segment_fixed_size 14784
		.amdhsa_private_segment_fixed_size 0
		.amdhsa_kernarg_size 104
		.amdhsa_user_sgpr_count 6
		.amdhsa_user_sgpr_private_segment_buffer 1
		.amdhsa_user_sgpr_dispatch_ptr 0
		.amdhsa_user_sgpr_queue_ptr 0
		.amdhsa_user_sgpr_kernarg_segment_ptr 1
		.amdhsa_user_sgpr_dispatch_id 0
		.amdhsa_user_sgpr_flat_scratch_init 0
		.amdhsa_user_sgpr_private_segment_size 0
		.amdhsa_wavefront_size32 1
		.amdhsa_uses_dynamic_stack 0
		.amdhsa_system_sgpr_private_segment_wavefront_offset 0
		.amdhsa_system_sgpr_workgroup_id_x 1
		.amdhsa_system_sgpr_workgroup_id_y 0
		.amdhsa_system_sgpr_workgroup_id_z 0
		.amdhsa_system_sgpr_workgroup_info 0
		.amdhsa_system_vgpr_workitem_id 0
		.amdhsa_next_free_vgpr 201
		.amdhsa_next_free_sgpr 16
		.amdhsa_reserve_vcc 1
		.amdhsa_reserve_flat_scratch 0
		.amdhsa_float_round_mode_32 0
		.amdhsa_float_round_mode_16_64 0
		.amdhsa_float_denorm_mode_32 3
		.amdhsa_float_denorm_mode_16_64 3
		.amdhsa_dx10_clamp 1
		.amdhsa_ieee_mode 1
		.amdhsa_fp16_overflow 0
		.amdhsa_workgroup_processor_mode 1
		.amdhsa_memory_ordered 1
		.amdhsa_forward_progress 0
		.amdhsa_shared_vgpr_count 0
		.amdhsa_exception_fp_ieee_invalid_op 0
		.amdhsa_exception_fp_denorm_src 0
		.amdhsa_exception_fp_ieee_div_zero 0
		.amdhsa_exception_fp_ieee_overflow 0
		.amdhsa_exception_fp_ieee_underflow 0
		.amdhsa_exception_fp_ieee_inexact 0
		.amdhsa_exception_int_div_zero 0
	.end_amdhsa_kernel
	.text
.Lfunc_end0:
	.size	bluestein_single_fwd_len1848_dim1_sp_op_CI_CI, .Lfunc_end0-bluestein_single_fwd_len1848_dim1_sp_op_CI_CI
                                        ; -- End function
	.section	.AMDGPU.csdata,"",@progbits
; Kernel info:
; codeLenInByte = 13096
; NumSgprs: 18
; NumVgprs: 201
; ScratchSize: 0
; MemoryBound: 0
; FloatMode: 240
; IeeeMode: 1
; LDSByteSize: 14784 bytes/workgroup (compile time only)
; SGPRBlocks: 2
; VGPRBlocks: 25
; NumSGPRsForWavesPerEU: 18
; NumVGPRsForWavesPerEU: 201
; Occupancy: 4
; WaveLimiterHint : 1
; COMPUTE_PGM_RSRC2:SCRATCH_EN: 0
; COMPUTE_PGM_RSRC2:USER_SGPR: 6
; COMPUTE_PGM_RSRC2:TRAP_HANDLER: 0
; COMPUTE_PGM_RSRC2:TGID_X_EN: 1
; COMPUTE_PGM_RSRC2:TGID_Y_EN: 0
; COMPUTE_PGM_RSRC2:TGID_Z_EN: 0
; COMPUTE_PGM_RSRC2:TIDIG_COMP_CNT: 0
	.text
	.p2alignl 6, 3214868480
	.fill 48, 4, 3214868480
	.type	__hip_cuid_906cf3da8fca0260,@object ; @__hip_cuid_906cf3da8fca0260
	.section	.bss,"aw",@nobits
	.globl	__hip_cuid_906cf3da8fca0260
__hip_cuid_906cf3da8fca0260:
	.byte	0                               ; 0x0
	.size	__hip_cuid_906cf3da8fca0260, 1

	.ident	"AMD clang version 19.0.0git (https://github.com/RadeonOpenCompute/llvm-project roc-6.4.0 25133 c7fe45cf4b819c5991fe208aaa96edf142730f1d)"
	.section	".note.GNU-stack","",@progbits
	.addrsig
	.addrsig_sym __hip_cuid_906cf3da8fca0260
	.amdgpu_metadata
---
amdhsa.kernels:
  - .args:
      - .actual_access:  read_only
        .address_space:  global
        .offset:         0
        .size:           8
        .value_kind:     global_buffer
      - .actual_access:  read_only
        .address_space:  global
        .offset:         8
        .size:           8
        .value_kind:     global_buffer
      - .actual_access:  read_only
        .address_space:  global
        .offset:         16
        .size:           8
        .value_kind:     global_buffer
      - .actual_access:  read_only
        .address_space:  global
        .offset:         24
        .size:           8
        .value_kind:     global_buffer
      - .actual_access:  read_only
        .address_space:  global
        .offset:         32
        .size:           8
        .value_kind:     global_buffer
      - .offset:         40
        .size:           8
        .value_kind:     by_value
      - .address_space:  global
        .offset:         48
        .size:           8
        .value_kind:     global_buffer
      - .address_space:  global
        .offset:         56
        .size:           8
        .value_kind:     global_buffer
      - .address_space:  global
        .offset:         64
        .size:           8
        .value_kind:     global_buffer
      - .address_space:  global
        .offset:         72
        .size:           8
        .value_kind:     global_buffer
      - .offset:         80
        .size:           4
        .value_kind:     by_value
      - .address_space:  global
        .offset:         88
        .size:           8
        .value_kind:     global_buffer
      - .address_space:  global
        .offset:         96
        .size:           8
        .value_kind:     global_buffer
    .group_segment_fixed_size: 14784
    .kernarg_segment_align: 8
    .kernarg_segment_size: 104
    .language:       OpenCL C
    .language_version:
      - 2
      - 0
    .max_flat_workgroup_size: 231
    .name:           bluestein_single_fwd_len1848_dim1_sp_op_CI_CI
    .private_segment_fixed_size: 0
    .sgpr_count:     18
    .sgpr_spill_count: 0
    .symbol:         bluestein_single_fwd_len1848_dim1_sp_op_CI_CI.kd
    .uniform_work_group_size: 1
    .uses_dynamic_stack: false
    .vgpr_count:     201
    .vgpr_spill_count: 0
    .wavefront_size: 32
    .workgroup_processor_mode: 1
amdhsa.target:   amdgcn-amd-amdhsa--gfx1030
amdhsa.version:
  - 1
  - 2
...

	.end_amdgpu_metadata
